;; amdgpu-corpus repo=ROCm/aiter kind=harvested arch=n/a opt=n/a

/root/src/amdgpu-assembly/repos/ROCm__aiter/hsa/gfx942/fmoe_fp8_g1u1_multix_subGU_448.co:	file format elf64-amdgpu

Disassembly of section .text:

0000000000002b00 <fmoe_fp8_g1u1_multix_subGU_448>:
	s_and_b32 s1, s1, 0xffff                                   // 000000002B00: 8601FF01 0000FFFF
	s_load_dwordx2 s[8:9], s[0:1], 0x0                         // 000000002B08: C0060200 00000000
	s_load_dwordx2 s[20:21], s[0:1], 0x10                      // 000000002B10: C0060500 00000010
	s_load_dwordx2 s[24:25], s[0:1], 0x20                      // 000000002B18: C0060600 00000020
	s_load_dwordx2 s[50:51], s[0:1], 0x30                      // 000000002B20: C0060C80 00000030
	s_load_dwordx2 s[12:13], s[0:1], 0x40                      // 000000002B28: C0060300 00000040
	s_load_dwordx2 s[28:29], s[0:1], 0x50                      // 000000002B30: C0060700 00000050
	s_load_dwordx2 s[32:33], s[0:1], 0x60                      // 000000002B38: C0060800 00000060
	s_load_dwordx2 s[16:17], s[0:1], 0x70                      // 000000002B40: C0060400 00000070
	s_load_dwordx2 s[36:37], s[0:1], 0x80                      // 000000002B48: C0060900 00000080
	s_load_dwordx2 s[44:45], s[0:1], 0x90                      // 000000002B50: C0060B00 00000090
	s_load_dwordx2 s[40:41], s[0:1], 0xa0                      // 000000002B58: C0060A00 000000A0
	s_load_dwordx2 s[46:47], s[0:1], 0xb0                      // 000000002B60: C0060B80 000000B0
	s_load_dword s64, s[0:1], 0xc0                             // 000000002B68: C0021000 000000C0
	s_load_dword s65, s[0:1], 0xd0                             // 000000002B70: C0021040 000000D0
	s_load_dword s66, s[0:1], 0xe0                             // 000000002B78: C0021080 000000E0
	s_load_dword s67, s[0:1], 0xf0                             // 000000002B80: C00210C0 000000F0
	s_load_dword s68, s[0:1], 0x100                            // 000000002B88: C0021100 00000100
	s_load_dword s69, s[0:1], 0x110                            // 000000002B90: C0021140 00000110
	s_load_dword s70, s[0:1], 0x120                            // 000000002B98: C0021180 00000120
	s_load_dword s71, s[0:1], 0x130                            // 000000002BA0: C00211C0 00000130
	s_load_dword s72, s[0:1], 0x140                            // 000000002BA8: C0021200 00000140
	s_load_dword s73, s[0:1], 0x150                            // 000000002BB0: C0021240 00000150
	s_load_dword s74, s[0:1], 0x160                            // 000000002BB8: C0021280 00000160
	s_load_dword s75, s[0:1], 0x170                            // 000000002BC0: C00212C0 00000170
	s_load_dword s76, s[0:1], 0x180                            // 000000002BC8: C0021300 00000180
	s_load_dword s63, s[0:1], 0x190                            // 000000002BD0: C0020FC0 00000190
	v_lshrrev_b32_e32 v1, 10, v0                               // 000000002BD8: 2002008A
	v_lshrrev_b32_e32 v2, 10, v1                               // 000000002BDC: 2004028A
	v_and_b32_e32 v2, 0x3ff, v2                                // 000000002BE0: 260404FF 000003FF
	v_and_b32_e32 v1, 0x3ff, v1                                // 000000002BE8: 260202FF 000003FF
	v_and_b32_e32 v0, 0x3ff, v0                                // 000000002BF0: 260000FF 000003FF
	v_lshrrev_b32_e32 v3, 6, v0                                // 000000002BF8: 20060086
	v_and_b32_e32 v0, 63, v0                                   // 000000002BFC: 260000BF
	s_mov_b32 s2, s2                                           // 000000002C00: BE820002
	s_mov_b32 s3, s3                                           // 000000002C04: BE830003
	s_mov_b32 s4, s4                                           // 000000002C08: BE840004
	v_readfirstlane_b32 s7, v3                                 // 000000002C0C: 7E0E0503
	s_waitcnt lgkmcnt(0)                                       // 000000002C10: BF8CC07F
	s_and_b32 s51, s51, 0xffff                                 // 000000002C14: 8633FF33 0000FFFF
	s_load_dword s50, s[50:51], 0x0                            // 000000002C1C: C0020C99 00000000
	s_and_b32 s45, s45, 0xffff                                 // 000000002C24: 862DFF2D 0000FFFF
	s_and_b32 s47, s47, 0xffff                                 // 000000002C2C: 862FFF2F 0000FFFF
	s_and_b32 s9, s9, 0xffff                                   // 000000002C34: 8609FF09 0000FFFF
	s_mul_i32 s60, s66, s68                                    // 000000002C3C: 923C4442
	s_mul_i32 s60, s63, s60                                    // 000000002C40: 923C3C3F
	s_mul_i32 s61, s66, 4                                      // 000000002C44: 923D8442
	s_mul_i32 s61, s63, s61                                    // 000000002C48: 923D3D3F
	s_mov_b32 s22, s60                                         // 000000002C4C: BE96003C
	s_mov_b32 s26, 0x80000000                                  // 000000002C50: BE9A00FF 80000000
	s_mov_b32 s14, 0x80000000                                  // 000000002C58: BE8E00FF 80000000
	s_mov_b32 s42, 0x80000000                                  // 000000002C60: BEAA00FF 80000000
	s_mov_b32 s30, s61                                         // 000000002C68: BE9E003D
	s_mov_b32 s34, 0x700                                       // 000000002C6C: BEA200FF 00000700
	s_mov_b32 s38, 0x700                                       // 000000002C74: BEA600FF 00000700
	s_mov_b32 s18, 0x80000000                                  // 000000002C7C: BE9200FF 80000000
	s_mov_b32 s23, 0x20000                                     // 000000002C84: BE9700FF 00020000
	s_mov_b32 s27, 0x20000                                     // 000000002C8C: BE9B00FF 00020000
	s_mov_b32 s15, 0x20000                                     // 000000002C94: BE8F00FF 00020000
	s_mov_b32 s43, 0x20000                                     // 000000002C9C: BEAB00FF 00020000
	s_mov_b32 s31, 0x20000                                     // 000000002CA4: BE9F00FF 00020000
	s_mov_b32 s35, 0x20000                                     // 000000002CAC: BEA300FF 00020000
	s_mov_b32 s39, 0x20000                                     // 000000002CB4: BEA700FF 00020000
	s_mov_b32 s19, 0x20000                                     // 000000002CBC: BE9300FF 00020000
	s_and_b32 s21, s21, 0xffff                                 // 000000002CC4: 8615FF15 0000FFFF
	s_and_b32 s25, s25, 0xffff                                 // 000000002CCC: 8619FF19 0000FFFF
	s_and_b32 s13, s13, 0xffff                                 // 000000002CD4: 860DFF0D 0000FFFF
	s_and_b32 s41, s41, 0xffff                                 // 000000002CDC: 8629FF29 0000FFFF
	s_and_b32 s29, s29, 0xffff                                 // 000000002CE4: 861DFF1D 0000FFFF
	s_and_b32 s33, s33, 0xffff                                 // 000000002CEC: 8621FF21 0000FFFF
	s_and_b32 s37, s37, 0xffff                                 // 000000002CF4: 8625FF25 0000FFFF
	s_and_b32 s17, s17, 0xffff                                 // 000000002CFC: 8611FF11 0000FFFF
	s_or_b32 s21, s21, 0x40000                                 // 000000002D04: 8715FF15 00040000
	s_or_b32 s25, s25, 0x40000                                 // 000000002D0C: 8719FF19 00040000
	s_or_b32 s13, s13, 0x40000                                 // 000000002D14: 870DFF0D 00040000
	s_or_b32 s41, s41, 0x40000                                 // 000000002D1C: 8729FF29 00040000
	s_or_b32 s29, s29, 0x40000                                 // 000000002D24: 871DFF1D 00040000
	s_or_b32 s33, s33, 0x40000                                 // 000000002D2C: 8721FF21 00040000
	s_or_b32 s37, s37, 0x40000                                 // 000000002D34: 8725FF25 00040000
	s_or_b32 s17, s17, 0x40000                                 // 000000002D3C: 8711FF11 00040000
	v_accvgpr_write_b32 a223, 0                                // 000000002D44: D3D940DF 18000080
	v_mov_b32_e32 v247, 0                                      // 000000002D4C: 7FEE0280
	s_waitcnt lgkmcnt(0)                                       // 000000002D50: BF8CC07F
	s_mul_i32 s60, s3, 32                                      // 000000002D54: 923CA003
	s_cmp_lt_i32 s60, s50                                      // 000000002D58: BF04323C
	s_cbranch_scc0 label_23DA                                  // 000000002D5C: BF842342
	s_mov_b32 s80, 0                                           // 000000002D60: BED00080
	s_mov_b32 s81, s64                                         // 000000002D64: BED10040
	s_mul_i32 s60, s3, 4                                       // 000000002D68: 923C8403
	s_add_u32 s46, s60, s46                                    // 000000002D6C: 802E2E3C
	s_addc_u32 s47, 0, s47                                     // 000000002D70: 822F2F80
	s_load_dword s5, s[46:47], 0x0                             // 000000002D74: C0020157 00000000
	s_mul_i32 s60, s3, 32                                      // 000000002D7C: 923CA003
	s_mul_i32 s60, 4, s60                                      // 000000002D80: 923C3C84
	v_and_b32_e32 v52, 15, v0                                  // 000000002D84: 2668008F
	v_lshlrev_b32_e32 v52, 2, v52                              // 000000002D88: 24686882
	v_add_u32_e32 v52, s60, v52                                // 000000002D8C: 6868683C
	v_mov_b32_e32 v53, 0                                       // 000000002D90: 7E6A0280
	global_load_dword v6, v52, s[44:45]                        // 000000002D94: DC508000 062C0034
	v_add_u32_e32 v52, 64, v52                                 // 000000002D9C: 686868C0
	global_load_dword v7, v52, s[44:45]                        // 000000002DA0: DC508000 072C0034
	s_mul_i32 s60, s3, 32                                      // 000000002DA8: 923CA003
	s_add_u32 s60, s7, s60                                     // 000000002DAC: 803C3C07
	s_mul_i32 s60, 4, s60                                      // 000000002DB0: 923C3C84
	s_add_u32 s44, s60, s44                                    // 000000002DB4: 802C2C3C
	s_addc_u32 s45, 0, s45                                     // 000000002DB8: 822D2D80
	s_load_dword s82, s[44:45], 0x0                            // 000000002DBC: C0021496 00000000
	s_load_dword s83, s[44:45], 0x10                           // 000000002DC4: C00214D6 00000010
	s_load_dword s84, s[44:45], 0x20                           // 000000002DCC: C0021516 00000020
	s_load_dword s85, s[44:45], 0x30                           // 000000002DD4: C0021556 00000030
	s_load_dword s86, s[44:45], 0x40                           // 000000002DDC: C0021596 00000040
	s_load_dword s87, s[44:45], 0x50                           // 000000002DE4: C00215D6 00000050
	s_load_dword s88, s[44:45], 0x60                           // 000000002DEC: C0021616 00000060
	s_load_dword s89, s[44:45], 0x70                           // 000000002DF4: C0021656 00000070
	s_waitcnt lgkmcnt(0)                                       // 000000002DFC: BF8CC07F
	v_lshlrev_b32_e32 v52, 2, v0                               // 000000002E00: 24680082
	s_lshr_b32 s61, s82, 24                                    // 000000002E04: 8F3D9852
	s_mul_i32 s61, s61, s68                                    // 000000002E08: 923D443D
	s_mul_i32 s61, s61, s66                                    // 000000002E0C: 923D423D
	s_and_b32 s82, s82, 0xffffff                               // 000000002E10: 8652FF52 00FFFFFF
	s_mul_i32 s60, s82, s68                                    // 000000002E18: 923C4452
	s_add_u32 s60, s61, s60                                    // 000000002E1C: 803C3C3D
	v_add_u32_e64 v26, v52, s60                                // 000000002E20: D134001A 00007934
	s_lshr_b32 s61, s83, 24                                    // 000000002E28: 8F3D9853
	s_mul_i32 s61, s61, s68                                    // 000000002E2C: 923D443D
	s_mul_i32 s61, s61, s66                                    // 000000002E30: 923D423D
	s_and_b32 s83, s83, 0xffffff                               // 000000002E34: 8653FF53 00FFFFFF
	s_mul_i32 s60, s83, s68                                    // 000000002E3C: 923C4453
	s_add_u32 s60, s61, s60                                    // 000000002E40: 803C3C3D
	v_add_u32_e64 v27, v52, s60                                // 000000002E44: D134001B 00007934
	s_lshr_b32 s61, s84, 24                                    // 000000002E4C: 8F3D9854
	s_mul_i32 s61, s61, s68                                    // 000000002E50: 923D443D
	s_mul_i32 s61, s61, s66                                    // 000000002E54: 923D423D
	s_and_b32 s84, s84, 0xffffff                               // 000000002E58: 8654FF54 00FFFFFF
	s_mul_i32 s60, s84, s68                                    // 000000002E60: 923C4454
	s_add_u32 s60, s61, s60                                    // 000000002E64: 803C3C3D
	v_add_u32_e64 v28, v52, s60                                // 000000002E68: D134001C 00007934
	s_lshr_b32 s61, s85, 24                                    // 000000002E70: 8F3D9855
	s_mul_i32 s61, s61, s68                                    // 000000002E74: 923D443D
	s_mul_i32 s61, s61, s66                                    // 000000002E78: 923D423D
	s_and_b32 s85, s85, 0xffffff                               // 000000002E7C: 8655FF55 00FFFFFF
	s_mul_i32 s60, s85, s68                                    // 000000002E84: 923C4455
	s_add_u32 s60, s61, s60                                    // 000000002E88: 803C3C3D
	v_add_u32_e64 v29, v52, s60                                // 000000002E8C: D134001D 00007934
	s_lshr_b32 s61, s86, 24                                    // 000000002E94: 8F3D9856
	s_mul_i32 s61, s61, s68                                    // 000000002E98: 923D443D
	s_mul_i32 s61, s61, s66                                    // 000000002E9C: 923D423D
	s_and_b32 s86, s86, 0xffffff                               // 000000002EA0: 8656FF56 00FFFFFF
	s_mul_i32 s60, s86, s68                                    // 000000002EA8: 923C4456
	s_add_u32 s60, s61, s60                                    // 000000002EAC: 803C3C3D
	v_add_u32_e64 v30, v52, s60                                // 000000002EB0: D134001E 00007934
	s_lshr_b32 s61, s87, 24                                    // 000000002EB8: 8F3D9857
	s_mul_i32 s61, s61, s68                                    // 000000002EBC: 923D443D
	s_mul_i32 s61, s61, s66                                    // 000000002EC0: 923D423D
	s_and_b32 s87, s87, 0xffffff                               // 000000002EC4: 8657FF57 00FFFFFF
	s_mul_i32 s60, s87, s68                                    // 000000002ECC: 923C4457
	s_add_u32 s60, s61, s60                                    // 000000002ED0: 803C3C3D
	v_add_u32_e64 v31, v52, s60                                // 000000002ED4: D134001F 00007934
	s_lshr_b32 s61, s88, 24                                    // 000000002EDC: 8F3D9858
	s_mul_i32 s61, s61, s68                                    // 000000002EE0: 923D443D
	s_mul_i32 s61, s61, s66                                    // 000000002EE4: 923D423D
	s_and_b32 s88, s88, 0xffffff                               // 000000002EE8: 8658FF58 00FFFFFF
	s_mul_i32 s60, s88, s68                                    // 000000002EF0: 923C4458
	s_add_u32 s60, s61, s60                                    // 000000002EF4: 803C3C3D
	v_add_u32_e64 v32, v52, s60                                // 000000002EF8: D1340020 00007934
	s_lshr_b32 s61, s89, 24                                    // 000000002F00: 8F3D9859
	s_mul_i32 s61, s61, s68                                    // 000000002F04: 923D443D
	s_mul_i32 s61, s61, s66                                    // 000000002F08: 923D423D
	s_and_b32 s89, s89, 0xffffff                               // 000000002F0C: 8659FF59 00FFFFFF
	s_mul_i32 s60, s89, s68                                    // 000000002F14: 923C4459
	s_add_u32 s60, s61, s60                                    // 000000002F18: 803C3C3D
	v_add_u32_e64 v33, v52, s60                                // 000000002F1C: D1340021 00007934
	v_lshlrev_b32_e32 v52, 2, v0                               // 000000002F24: 24680082
	s_mul_i32 s60, s82, s71                                    // 000000002F28: 923C4752
	v_add_u32_e64 v80, v52, s60                                // 000000002F2C: D1340050 00007934
	v_mov_b32_e32 v81, 0                                       // 000000002F34: 7EA20280
	s_mul_i32 s60, s83, s71                                    // 000000002F38: 923C4753
	v_add_u32_e64 v82, v52, s60                                // 000000002F3C: D1340052 00007934
	v_mov_b32_e32 v83, 0                                       // 000000002F44: 7EA60280
	s_mul_i32 s60, s84, s71                                    // 000000002F48: 923C4754
	v_add_u32_e64 v84, v52, s60                                // 000000002F4C: D1340054 00007934
	v_mov_b32_e32 v85, 0                                       // 000000002F54: 7EAA0280
	s_mul_i32 s60, s85, s71                                    // 000000002F58: 923C4755
	v_add_u32_e64 v86, v52, s60                                // 000000002F5C: D1340056 00007934
	v_mov_b32_e32 v87, 0                                       // 000000002F64: 7EAE0280
	s_mul_i32 s60, s86, s71                                    // 000000002F68: 923C4756
	v_add_u32_e64 v88, v52, s60                                // 000000002F6C: D1340058 00007934
	v_mov_b32_e32 v89, 0                                       // 000000002F74: 7EB20280
	s_mul_i32 s60, s87, s71                                    // 000000002F78: 923C4757
	v_add_u32_e64 v90, v52, s60                                // 000000002F7C: D134005A 00007934
	v_mov_b32_e32 v91, 0                                       // 000000002F84: 7EB60280
	s_mul_i32 s60, s88, s71                                    // 000000002F88: 923C4758
	v_add_u32_e64 v92, v52, s60                                // 000000002F8C: D134005C 00007934
	v_mov_b32_e32 v93, 0                                       // 000000002F94: 7EBA0280
	s_mul_i32 s60, s89, s71                                    // 000000002F98: 923C4759
	v_add_u32_e64 v94, v52, s60                                // 000000002F9C: D134005E 00007934
	v_mov_b32_e32 v95, 0                                       // 000000002FA4: 7EBE0280
	s_mul_i32 s60, s7, 0x820                                   // 000000002FA8: 923CFF07 00000820
	s_add_u32 s50, 0, s60                                      // 000000002FB0: 80323C80
	s_add_u32 s51, 0x2080, s50                                 // 000000002FB4: 803332FF 00002080
	v_lshrrev_b32_e32 v52, 4, v0                               // 000000002FBC: 20680084
	v_lshlrev_b32_e32 v53, 2, v52                              // 000000002FC0: 246A6882
	v_and_b32_e32 v52, 15, v0                                  // 000000002FC4: 2668008F
	v_lshrrev_b32_e32 v54, 2, v52                              // 000000002FC8: 206C6882
	v_lshlrev_b32_e32 v54, 6, v54                              // 000000002FCC: 246C6C86
	v_add_u32_e32 v53, v54, v53                                // 000000002FD0: 686A6B36
	v_and_b32_e32 v52, 3, v0                                   // 000000002FD4: 26680083
	v_mul_i32_i24_e32 v54, 0x208, v52                          // 000000002FD8: 0C6C68FF 00000208
	v_add_u32_e32 v53, v54, v53                                // 000000002FE0: 686A6B36
	v_lshlrev_b32_e32 v2, 2, v53                               // 000000002FE4: 24046A82
	s_mul_i32 s60, s2, 0x1c0                                   // 000000002FE8: 923CFF02 000001C0
	s_mul_i32 s60, s60, s69                                    // 000000002FF0: 923C453C
	s_mul_i32 s61, s5, s72                                     // 000000002FF4: 923D4805
	s_add_u32 s60, s61, s60                                    // 000000002FF8: 803C3C3D
	s_add_u32 s24, s60, s24                                    // 000000002FFC: 8018183C
	s_addc_u32 s25, 0, s25                                     // 000000003000: 82191980
	s_mul_i32 s60, s7, 16                                      // 000000003004: 923C9007
	s_mul_i32 s60, s60, s69                                    // 000000003008: 923C453C
	v_lshlrev_b32_e32 v34, 4, v0                               // 00000000300C: 24440084
	v_add_u32_e32 v34, s60, v34                                // 000000003010: 6844443C
	s_mul_i32 s60, 64, s69                                     // 000000003014: 923C45C0
	v_add_u32_e32 v35, s60, v34                                // 000000003018: 6846443C
	v_add_u32_e32 v36, s60, v35                                // 00000000301C: 6848463C
	v_add_u32_e32 v37, s60, v36                                // 000000003020: 684A483C
	v_add_u32_e32 v38, s60, v37                                // 000000003024: 684C4A3C
	v_add_u32_e32 v39, s60, v38                                // 000000003028: 684E4C3C
	v_add_u32_e32 v40, s60, v39                                // 00000000302C: 68504E3C
	s_mov_b32 s92, s24                                         // 000000003030: BEDC0018
	s_mov_b32 s93, s25                                         // 000000003034: BEDD0019
	s_mov_b32 s94, s26                                         // 000000003038: BEDE001A
	s_mov_b32 s95, s27                                         // 00000000303C: BEDF001B
	s_mul_i32 s60, s69, s65                                    // 000000003040: 923C4145
	s_add_u32 s92, s60, s92                                    // 000000003044: 805C5C3C
	s_addc_u32 s93, 0, s93                                     // 000000003048: 825D5D80
	s_mul_i32 s60, s2, 0x1c00                                  // 00000000304C: 923CFF02 00001C00
	s_mul_i32 s61, s5, s73                                     // 000000003054: 923D4905
	s_add_u32 s60, s61, s60                                    // 000000003058: 803C3C3D
	s_add_u32 s12, s60, s12                                    // 00000000305C: 800C0C3C
	s_addc_u32 s13, 0, s13                                     // 000000003060: 820D0D80
	s_mul_i32 s60, s7, 16                                      // 000000003064: 923C9007
	s_mul_i32 s60, s60, s70                                    // 000000003068: 923C463C
	v_lshlrev_b32_e32 v41, 4, v0                               // 00000000306C: 24520084
	v_add_u32_e32 v41, s60, v41                                // 000000003070: 6852523C
	s_mul_i32 s60, 64, s70                                     // 000000003074: 923C46C0
	v_add_u32_e32 v42, s60, v41                                // 000000003078: 6854523C
	v_add_u32_e32 v43, s60, v42                                // 00000000307C: 6856543C
	v_add_u32_e32 v44, s60, v43                                // 000000003080: 6858563C
	s_mul_i32 s60, s70, 0x100                                  // 000000003084: 923CFF46 00000100
	s_mov_b32 s78, 0x400                                       // 00000000308C: BECE00FF 00000400
	s_mul_i32 s61, s78, 6                                      // 000000003094: 923D864E
	s_sub_u32 s56, s60, s61                                    // 000000003098: 80B83D3C
	s_mul_i32 s60, s3, 32                                      // 00000000309C: 923CA003
	s_mul_i32 s60, 4, s60                                      // 0000000030A0: 923C3C84
	s_add_u32 s40, s60, s40                                    // 0000000030A4: 8028283C
	s_addc_u32 s41, 0, s41                                     // 0000000030A8: 82292980
	v_and_b32_e32 v52, 15, v0                                  // 0000000030AC: 2668008F
	v_lshlrev_b32_e32 v8, 2, v52                               // 0000000030B0: 24106882
	v_add_u32_e32 v9, 64, v8                                   // 0000000030B4: 681210C0
	v_lshrrev_b32_e32 v52, 4, v0                               // 0000000030B8: 20680084
	v_lshlrev_b32_e32 v53, 2, v52                              // 0000000030BC: 246A6882
	v_and_b32_e32 v52, 15, v0                                  // 0000000030C0: 2668008F
	v_lshrrev_b32_e32 v54, 2, v52                              // 0000000030C4: 206C6882
	v_lshlrev_b32_e32 v54, 6, v54                              // 0000000030C8: 246C6C86
	v_add_u32_e32 v53, v54, v53                                // 0000000030CC: 686A6B36
	v_and_b32_e32 v52, 3, v0                                   // 0000000030D0: 26680083
	v_add_u32_e32 v53, v52, v53                                // 0000000030D4: 686A6B34
	v_lshlrev_b32_e32 v10, 2, v53                              // 0000000030D8: 24146A82
	v_add_u32_e32 v11, 0x400, v10                              // 0000000030DC: 681614FF 00000400
	s_mul_i32 s60, s7, 16                                      // 0000000030E4: 923C9007
	s_mul_i32 s60, s60, 4                                      // 0000000030E8: 923C843C
	v_add_u32_e32 v10, s60, v10                                // 0000000030EC: 6814143C
	v_add_u32_e32 v11, s60, v11                                // 0000000030F0: 6816163C
	v_mov_b32_e32 v5, v10                                      // 0000000030F4: 7E0A030A
	s_mul_i32 s60, s2, 0x1c0                                   // 0000000030F8: 923CFF02 000001C0
	s_mul_i32 s60, s60, 4                                      // 000000003100: 923C843C
	s_mul_i32 s61, s5, s74                                     // 000000003104: 923D4A05
	s_add_u32 s61, s61, s60                                    // 000000003108: 803D3C3D
	s_mul_i32 s62, s5, s76                                     // 00000000310C: 923E4C05
	s_add_u32 s62, s62, s60                                    // 000000003110: 803E3C3E
	s_add_u32 s32, s61, s32                                    // 000000003114: 8020203D
	s_addc_u32 s33, 0, s33                                     // 000000003118: 82212180
	s_add_u32 s36, s62, s36                                    // 00000000311C: 8024243E
	s_addc_u32 s37, 0, s37                                     // 000000003120: 82252580
	s_mul_i32 s60, s5, s75                                     // 000000003124: 923C4B05
	s_add_u32 s16, s60, s16                                    // 000000003128: 8010103C
	s_addc_u32 s17, 0, s17                                     // 00000000312C: 82111180
	s_mov_b32 s57, 0x100                                       // 000000003130: BEB900FF 00000100
	s_mov_b32 s58, 0x1000                                      // 000000003138: BEBA00FF 00001000
	s_mov_b32 s79, 0x400                                       // 000000003140: BECF00FF 00000400
	s_mov_b32 s59, 0x200                                       // 000000003148: BEBB00FF 00000200
	s_mov_b32 s90, s58                                         // 000000003150: BEDA003A
	s_mov_b32 s52, 0x7060302                                   // 000000003154: BEB400FF 07060302
	s_mov_b32 s53, 0x400                                       // 00000000315C: BEB500FF 00000400
	s_mov_b32 s54, 0x40100                                     // 000000003164: BEB600FF 00040100
	s_mov_b32 s55, 0x4020100                                   // 00000000316C: BEB700FF 04020100
	s_mov_b32 s6, 0x3fb8aa3b                                   // 000000003174: BE8600FF 3FB8AA3B
	s_mov_b32 s77, 0xbd92220c                                  // 00000000317C: BECD00FF BD92220C
	s_mov_b32 m0, s50                                          // 000000003184: BEFC0032
	v_mov_b32_e32 v1, 0xbfcc4231                               // 000000003188: 7E0202FF BFCC4231
	v_mov_b32_e32 v46, 0xffff0000                              // 000000003190: 7E5C02FF FFFF0000
	v_mov_b32_e32 v47, 0x7fff0000                              // 000000003198: 7E5E02FF 7FFF0000
	v_mov_b32_e32 v48, 0x7fff                                  // 0000000031A0: 7E6002FF 00007FFF
	s_waitcnt vmcnt(0) expcnt(0) lgkmcnt(0)                    // 0000000031A8: BF8C0000
	v_lshrrev_b32_e32 v52, 24, v6                              // 0000000031AC: 20680C98
	v_mul_i32_i24_e32 v52, s66, v52                            // 0000000031B0: 0C686842
	v_and_b32_e32 v53, 0xffffff, v6                            // 0000000031B4: 266A0CFF 00FFFFFF
	v_add_u32_e32 v6, v52, v53                                 // 0000000031BC: 680C6B34
	v_lshrrev_b32_e32 v52, 24, v7                              // 0000000031C0: 20680E98
	v_mul_i32_i24_e32 v52, s66, v52                            // 0000000031C4: 0C686842
	v_and_b32_e32 v53, 0xffffff, v7                            // 0000000031C8: 266A0EFF 00FFFFFF
	v_add_u32_e32 v7, v52, v53                                 // 0000000031D0: 680E6B34
	v_lshlrev_b32_e32 v6, 2, v6                                // 0000000031D4: 240C0C82
	v_lshlrev_b32_e32 v7, 2, v7                                // 0000000031D8: 240E0E82
	buffer_load_dword v14, v6, s[28:31], 0 offen               // 0000000031DC: E0501000 80070E06
	buffer_load_dword v15, v7, s[28:31], 0 offen               // 0000000031E4: E0501000 80070F07
	buffer_load_dword v16, v10, s[32:35], 0 offen              // 0000000031EC: E0501000 8008100A
	buffer_load_dword v17, v11, s[32:35], 0 offen              // 0000000031F4: E0501000 8008110B
	s_mul_i32 s60, 4, s65                                      // 0000000031FC: 923C4184
	s_add_u32 s32, s60, s32                                    // 000000003200: 8020203C
	s_addc_u32 s33, 0, s33                                     // 000000003204: 82212180
	buffer_load_dword v49, v10, s[32:35], 0 offen              // 000000003208: E0501000 8008310A
	buffer_load_dword v50, v11, s[32:35], 0 offen              // 000000003210: E0501000 8008320B
	buffer_load_dword v18, v10, s[36:39], 0 offen              // 000000003218: E0501000 8009120A
	buffer_load_dword v19, v11, s[36:39], 0 offen              // 000000003220: E0501000 8009130B
	buffer_load_dword v20, v8, s[40:43], 0 offen               // 000000003228: E0501000 800A1408
	buffer_load_dword v21, v9, s[40:43], 0 offen               // 000000003230: E0501000 800A1509
	buffer_load_dword v26, s[20:23], 0 offen lds               // 000000003238: E0511000 8005001A
	s_add_u32 m0, 0x100, s50                                   // 000000003240: 807C32FF 00000100
	buffer_load_dword v27, s[20:23], 0 offen lds               // 000000003248: E0511000 8005001B
	s_add_u32 m0, 0x200, s50                                   // 000000003250: 807C32FF 00000200
	buffer_load_dword v28, s[20:23], 0 offen lds               // 000000003258: E0511000 8005001C
	s_add_u32 m0, 0x300, s50                                   // 000000003260: 807C32FF 00000300
	buffer_load_dword v29, s[20:23], 0 offen lds               // 000000003268: E0511000 8005001D
	s_add_u32 m0, 0x400, s50                                   // 000000003270: 807C32FF 00000400
	buffer_load_dword v30, s[20:23], 0 offen lds               // 000000003278: E0511000 8005001E
	s_add_u32 m0, 0x500, s50                                   // 000000003280: 807C32FF 00000500
	buffer_load_dword v31, s[20:23], 0 offen lds               // 000000003288: E0511000 8005001F
	s_add_u32 m0, 0x600, s50                                   // 000000003290: 807C32FF 00000600
	buffer_load_dword v32, s[20:23], 0 offen lds               // 000000003298: E0511000 80050020
	s_add_u32 m0, 0x700, s50                                   // 0000000032A0: 807C32FF 00000700
	buffer_load_dword v33, s[20:23], 0 offen lds               // 0000000032A8: E0511000 80050021
	s_add_u32 m0, 0, s51                                       // 0000000032B0: 807C3380
	s_add_u32 s20, s57, s20                                    // 0000000032B4: 80141439
	s_addc_u32 s21, 0, s21                                     // 0000000032B8: 82151580
	buffer_load_dwordx4 a[0:3], v34, s[24:27], 0 offen         // 0000000032BC: E05C1000 80860022
	buffer_load_dwordx4 a[4:7], v34, s[24:27], 0 offen offset:1024// 0000000032C4: E05C1400 80860422
	buffer_load_dwordx4 a[8:11], v34, s[24:27], 0 offen offset:2048// 0000000032CC: E05C1800 80860822
	buffer_load_dwordx4 a[12:15], v34, s[24:27], 0 offen offset:3072// 0000000032D4: E05C1C00 80860C22
	buffer_load_dwordx4 a[16:19], v35, s[24:27], 0 offen       // 0000000032DC: E05C1000 80861023
	buffer_load_dwordx4 a[20:23], v35, s[24:27], 0 offen offset:1024// 0000000032E4: E05C1400 80861423
	buffer_load_dwordx4 a[24:27], v35, s[24:27], 0 offen offset:2048// 0000000032EC: E05C1800 80861823
	buffer_load_dwordx4 a[28:31], v35, s[24:27], 0 offen offset:3072// 0000000032F4: E05C1C00 80861C23
	buffer_load_dwordx4 a[32:35], v36, s[24:27], 0 offen       // 0000000032FC: E05C1000 80862024
	buffer_load_dwordx4 a[36:39], v36, s[24:27], 0 offen offset:1024// 000000003304: E05C1400 80862424
	buffer_load_dwordx4 a[40:43], v36, s[24:27], 0 offen offset:2048// 00000000330C: E05C1800 80862824
	buffer_load_dwordx4 a[44:47], v36, s[24:27], 0 offen offset:3072// 000000003314: E05C1C00 80862C24
	buffer_load_dwordx4 a[48:51], v37, s[24:27], 0 offen       // 00000000331C: E05C1000 80863025
	buffer_load_dwordx4 a[52:55], v37, s[24:27], 0 offen offset:1024// 000000003324: E05C1400 80863425
	buffer_load_dwordx4 a[56:59], v37, s[24:27], 0 offen offset:2048// 00000000332C: E05C1800 80863825
	buffer_load_dwordx4 a[60:63], v37, s[24:27], 0 offen offset:3072// 000000003334: E05C1C00 80863C25
	buffer_load_dwordx4 a[64:67], v38, s[24:27], 0 offen       // 00000000333C: E05C1000 80864026
	buffer_load_dwordx4 a[68:71], v38, s[24:27], 0 offen offset:1024// 000000003344: E05C1400 80864426
	buffer_load_dwordx4 a[72:75], v38, s[24:27], 0 offen offset:2048// 00000000334C: E05C1800 80864826
	buffer_load_dwordx4 a[76:79], v38, s[24:27], 0 offen offset:3072// 000000003354: E05C1C00 80864C26
	buffer_load_dwordx4 a[80:83], v39, s[24:27], 0 offen       // 00000000335C: E05C1000 80865027
	buffer_load_dwordx4 a[84:87], v39, s[24:27], 0 offen offset:1024// 000000003364: E05C1400 80865427
	buffer_load_dwordx4 a[88:91], v39, s[24:27], 0 offen offset:2048// 00000000336C: E05C1800 80865827
	buffer_load_dwordx4 a[92:95], v39, s[24:27], 0 offen offset:3072// 000000003374: E05C1C00 80865C27
	buffer_load_dwordx4 a[96:99], v40, s[24:27], 0 offen       // 00000000337C: E05C1000 80866028
	buffer_load_dwordx4 a[100:103], v40, s[24:27], 0 offen offset:1024// 000000003384: E05C1400 80866428
	buffer_load_dwordx4 a[104:107], v40, s[24:27], 0 offen offset:2048// 00000000338C: E05C1800 80866828
	buffer_load_dwordx4 a[108:111], v40, s[24:27], 0 offen offset:3072// 000000003394: E05C1C00 80866C28
	s_add_u32 s24, s58, s24                                    // 00000000339C: 8018183A
	s_addc_u32 s25, 0, s25                                     // 0000000033A0: 82191980
	v_mov_b32_e32 v128, 0                                      // 0000000033A4: 7F000280
	v_mov_b32_e32 v64, 0                                       // 0000000033A8: 7E800280
	v_mov_b32_e32 v129, 0                                      // 0000000033AC: 7F020280
	v_mov_b32_e32 v65, 0                                       // 0000000033B0: 7E820280
	v_mov_b32_e32 v130, 0                                      // 0000000033B4: 7F040280
	v_mov_b32_e32 v66, 0                                       // 0000000033B8: 7E840280
	v_mov_b32_e32 v131, 0                                      // 0000000033BC: 7F060280
	v_mov_b32_e32 v67, 0                                       // 0000000033C0: 7E860280
	v_mov_b32_e32 v132, 0                                      // 0000000033C4: 7F080280
	v_mov_b32_e32 v68, 0                                       // 0000000033C8: 7E880280
	v_mov_b32_e32 v133, 0                                      // 0000000033CC: 7F0A0280
	v_mov_b32_e32 v69, 0                                       // 0000000033D0: 7E8A0280
	v_mov_b32_e32 v134, 0                                      // 0000000033D4: 7F0C0280
	v_mov_b32_e32 v70, 0                                       // 0000000033D8: 7E8C0280
	v_mov_b32_e32 v135, 0                                      // 0000000033DC: 7F0E0280
	v_mov_b32_e32 v71, 0                                       // 0000000033E0: 7E8E0280
	v_mov_b32_e32 v136, 0                                      // 0000000033E4: 7F100280
	v_mov_b32_e32 v72, 0                                       // 0000000033E8: 7E900280
	v_mov_b32_e32 v137, 0                                      // 0000000033EC: 7F120280
	v_mov_b32_e32 v73, 0                                       // 0000000033F0: 7E920280
	v_mov_b32_e32 v138, 0                                      // 0000000033F4: 7F140280
	v_mov_b32_e32 v74, 0                                       // 0000000033F8: 7E940280
	v_mov_b32_e32 v139, 0                                      // 0000000033FC: 7F160280
	v_mov_b32_e32 v75, 0                                       // 000000003400: 7E960280
	v_mov_b32_e32 v140, 0                                      // 000000003404: 7F180280
	v_mov_b32_e32 v76, 0                                       // 000000003408: 7E980280
	v_mov_b32_e32 v141, 0                                      // 00000000340C: 7F1A0280
	v_mov_b32_e32 v77, 0                                       // 000000003410: 7E9A0280
	v_mov_b32_e32 v142, 0                                      // 000000003414: 7F1C0280
	v_mov_b32_e32 v78, 0                                       // 000000003418: 7E9C0280
	v_mov_b32_e32 v143, 0                                      // 00000000341C: 7F1E0280
	v_mov_b32_e32 v79, 0                                       // 000000003420: 7E9E0280
	v_mov_b32_e32 v144, 0                                      // 000000003424: 7F200280
	v_mov_b32_e32 v80, 0                                       // 000000003428: 7EA00280
	v_mov_b32_e32 v145, 0                                      // 00000000342C: 7F220280
	v_mov_b32_e32 v81, 0                                       // 000000003430: 7EA20280
	v_mov_b32_e32 v146, 0                                      // 000000003434: 7F240280
	v_mov_b32_e32 v82, 0                                       // 000000003438: 7EA40280
	v_mov_b32_e32 v147, 0                                      // 00000000343C: 7F260280
	v_mov_b32_e32 v83, 0                                       // 000000003440: 7EA60280
	v_mov_b32_e32 v148, 0                                      // 000000003444: 7F280280
	v_mov_b32_e32 v84, 0                                       // 000000003448: 7EA80280
	v_mov_b32_e32 v149, 0                                      // 00000000344C: 7F2A0280
	v_mov_b32_e32 v85, 0                                       // 000000003450: 7EAA0280
	v_mov_b32_e32 v150, 0                                      // 000000003454: 7F2C0280
	v_mov_b32_e32 v86, 0                                       // 000000003458: 7EAC0280
	v_mov_b32_e32 v151, 0                                      // 00000000345C: 7F2E0280
	v_mov_b32_e32 v87, 0                                       // 000000003460: 7EAE0280
	v_mov_b32_e32 v152, 0                                      // 000000003464: 7F300280
	v_mov_b32_e32 v88, 0                                       // 000000003468: 7EB00280
	v_mov_b32_e32 v153, 0                                      // 00000000346C: 7F320280
	v_mov_b32_e32 v89, 0                                       // 000000003470: 7EB20280
	v_mov_b32_e32 v154, 0                                      // 000000003474: 7F340280
	v_mov_b32_e32 v90, 0                                       // 000000003478: 7EB40280
	v_mov_b32_e32 v155, 0                                      // 00000000347C: 7F360280
	v_mov_b32_e32 v91, 0                                       // 000000003480: 7EB60280
	v_mov_b32_e32 v156, 0                                      // 000000003484: 7F380280
	v_mov_b32_e32 v92, 0                                       // 000000003488: 7EB80280
	v_mov_b32_e32 v157, 0                                      // 00000000348C: 7F3A0280
	v_mov_b32_e32 v93, 0                                       // 000000003490: 7EBA0280
	v_mov_b32_e32 v158, 0                                      // 000000003494: 7F3C0280
	v_mov_b32_e32 v94, 0                                       // 000000003498: 7EBC0280
	v_mov_b32_e32 v159, 0                                      // 00000000349C: 7F3E0280
	v_mov_b32_e32 v95, 0                                       // 0000000034A0: 7EBE0280
	v_mov_b32_e32 v160, 0                                      // 0000000034A4: 7F400280
	v_mov_b32_e32 v96, 0                                       // 0000000034A8: 7EC00280
	v_mov_b32_e32 v161, 0                                      // 0000000034AC: 7F420280
	v_mov_b32_e32 v97, 0                                       // 0000000034B0: 7EC20280
	v_mov_b32_e32 v162, 0                                      // 0000000034B4: 7F440280
	v_mov_b32_e32 v98, 0                                       // 0000000034B8: 7EC40280
	v_mov_b32_e32 v163, 0                                      // 0000000034BC: 7F460280
	v_mov_b32_e32 v99, 0                                       // 0000000034C0: 7EC60280
	v_mov_b32_e32 v164, 0                                      // 0000000034C4: 7F480280
	v_mov_b32_e32 v100, 0                                      // 0000000034C8: 7EC80280
	v_mov_b32_e32 v165, 0                                      // 0000000034CC: 7F4A0280
	v_mov_b32_e32 v101, 0                                      // 0000000034D0: 7ECA0280
	v_mov_b32_e32 v166, 0                                      // 0000000034D4: 7F4C0280
	v_mov_b32_e32 v102, 0                                      // 0000000034D8: 7ECC0280
	v_mov_b32_e32 v167, 0                                      // 0000000034DC: 7F4E0280
	v_mov_b32_e32 v103, 0                                      // 0000000034E0: 7ECE0280
	v_mov_b32_e32 v168, 0                                      // 0000000034E4: 7F500280
	v_mov_b32_e32 v104, 0                                      // 0000000034E8: 7ED00280
	v_mov_b32_e32 v169, 0                                      // 0000000034EC: 7F520280
	v_mov_b32_e32 v105, 0                                      // 0000000034F0: 7ED20280
	v_mov_b32_e32 v170, 0                                      // 0000000034F4: 7F540280
	v_mov_b32_e32 v106, 0                                      // 0000000034F8: 7ED40280
	v_mov_b32_e32 v171, 0                                      // 0000000034FC: 7F560280
	v_mov_b32_e32 v107, 0                                      // 000000003500: 7ED60280
	v_mov_b32_e32 v172, 0                                      // 000000003504: 7F580280
	v_mov_b32_e32 v108, 0                                      // 000000003508: 7ED80280
	v_mov_b32_e32 v173, 0                                      // 00000000350C: 7F5A0280
	v_mov_b32_e32 v109, 0                                      // 000000003510: 7EDA0280
	v_mov_b32_e32 v174, 0                                      // 000000003514: 7F5C0280
	v_mov_b32_e32 v110, 0                                      // 000000003518: 7EDC0280
	v_mov_b32_e32 v175, 0                                      // 00000000351C: 7F5E0280
	v_mov_b32_e32 v111, 0                                      // 000000003520: 7EDE0280
	v_mov_b32_e32 v176, 0                                      // 000000003524: 7F600280
	v_mov_b32_e32 v112, 0                                      // 000000003528: 7EE00280
	v_mov_b32_e32 v177, 0                                      // 00000000352C: 7F620280
	v_mov_b32_e32 v113, 0                                      // 000000003530: 7EE20280
	v_mov_b32_e32 v178, 0                                      // 000000003534: 7F640280
	v_mov_b32_e32 v114, 0                                      // 000000003538: 7EE40280
	v_mov_b32_e32 v179, 0                                      // 00000000353C: 7F660280
	v_mov_b32_e32 v115, 0                                      // 000000003540: 7EE60280
	v_mov_b32_e32 v180, 0                                      // 000000003544: 7F680280
	v_mov_b32_e32 v116, 0                                      // 000000003548: 7EE80280
	v_mov_b32_e32 v181, 0                                      // 00000000354C: 7F6A0280
	v_mov_b32_e32 v117, 0                                      // 000000003550: 7EEA0280
	v_mov_b32_e32 v182, 0                                      // 000000003554: 7F6C0280
	v_mov_b32_e32 v118, 0                                      // 000000003558: 7EEC0280
	v_mov_b32_e32 v183, 0                                      // 00000000355C: 7F6E0280
	v_mov_b32_e32 v119, 0                                      // 000000003560: 7EEE0280
	v_lshrrev_b32_e32 v52, 4, v0                               // 000000003564: 20680084
	v_mul_i32_i24_e32 v3, 34, v52                              // 000000003568: 0C0668A2
	v_and_b32_e32 v52, 15, v0                                  // 00000000356C: 2668008F
	v_mul_i32_i24_e32 v53, 2, v52                              // 000000003570: 0C6A6882
	v_add_u32_e32 v3, v53, v3                                  // 000000003574: 68060735
	s_mul_i32 s60, s7, 0x88                                    // 000000003578: 923CFF07 00000088
	v_add_u32_e32 v3, s60, v3                                  // 000000003580: 6806063C
	v_lshlrev_b32_e32 v3, 2, v3                                // 000000003584: 24060682
	v_lshrrev_b32_e32 v52, 1, v0                               // 000000003588: 20680081
	v_mul_i32_i24_e32 v4, 34, v52                              // 00000000358C: 0C0868A2
	v_and_b32_e32 v53, 1, v0                                   // 000000003590: 266A0081
	v_add_u32_e32 v4, v53, v4                                  // 000000003594: 68080935
	s_mul_i32 s60, s7, 2                                       // 000000003598: 923C8207
	v_add_u32_e32 v4, s60, v4                                  // 00000000359C: 6808083C
	v_lshlrev_b32_e32 v4, 2, v4                                // 0000000035A0: 24080882
	s_waitcnt vmcnt(28)                                        // 0000000035A4: BF8C4F7C
	s_barrier                                                  // 0000000035A8: BF8A0000
	ds_read_b128 v[184:187], v2                                // 0000000035AC: D9FE0000 B8000002
	ds_read_b128 v[188:191], v2 offset:64                      // 0000000035B4: D9FE0040 BC000002
	ds_read_b128 v[192:195], v2 offset:128                     // 0000000035BC: D9FE0080 C0000002
	ds_read_b128 v[196:199], v2 offset:192                     // 0000000035C4: D9FE00C0 C4000002
	ds_read_b128 v[200:203], v2 offset:1024                    // 0000000035CC: D9FE0400 C8000002
	ds_read_b128 v[204:207], v2 offset:1088                    // 0000000035D4: D9FE0440 CC000002
	ds_read_b128 v[208:211], v2 offset:1152                    // 0000000035DC: D9FE0480 D0000002
	ds_read_b128 v[212:215], v2 offset:1216                    // 0000000035E4: D9FE04C0 D4000002
	s_cmp_lt_i32 s7, 2                                         // 0000000035EC: BF048207
	s_cbranch_scc0 label_134D                                  // 0000000035F0: BF841090

00000000000035f4 <label_02BD>:
	s_waitcnt vmcnt(20) lgkmcnt(0)                             // 0000000035F4: BF8C4074
	s_barrier                                                  // 0000000035F8: BF8A0000
	v_mfma_f32_16x16x32_fp8_fp8 v[128:131], a[0:1], v[184:185], v[128:131]// 0000000035FC: D3F30080 0E037100
	v_mfma_f32_16x16x32_fp8_fp8 v[128:131], a[2:3], v[186:187], v[128:131]// 000000003604: D3F30080 0E037502
	buffer_load_dwordx4 a[112:115], v34, s[92:95], 0 offen     // 00000000360C: E05C1000 80977022
	v_mfma_f32_16x16x32_fp8_fp8 v[128:131], a[4:5], v[188:189], v[128:131]// 000000003614: D3F30080 0E037904
	v_mfma_f32_16x16x32_fp8_fp8 v[128:131], a[6:7], v[190:191], v[128:131]// 00000000361C: D3F30080 0E037D06
	buffer_load_dword v26, s[20:23], 0 offen lds               // 000000003624: E0511000 8005001A
	s_add_u32 m0, 0x100, s51                                   // 00000000362C: 807C33FF 00000100
	v_mfma_f32_16x16x32_fp8_fp8 v[128:131], a[8:9], v[192:193], v[128:131]// 000000003634: D3F30080 0E038108
	v_mfma_f32_16x16x32_fp8_fp8 v[128:131], a[10:11], v[194:195], v[128:131]// 00000000363C: D3F30080 0E03850A
	buffer_load_dwordx4 a[116:119], v34, s[92:95], 0 offen offset:1024// 000000003644: E05C1400 80977422
	v_mfma_f32_16x16x32_fp8_fp8 v[128:131], a[12:13], v[196:197], v[128:131]// 00000000364C: D3F30080 0E03890C
	v_mfma_f32_16x16x32_fp8_fp8 v[128:131], a[14:15], v[198:199], v[128:131]// 000000003654: D3F30080 0E038D0E
	buffer_load_dword v27, s[20:23], 0 offen lds               // 00000000365C: E0511000 8005001B
	s_add_u32 m0, 0x200, s51                                   // 000000003664: 807C33FF 00000200
	v_mfma_f32_16x16x32_fp8_fp8 v[132:135], a[0:1], v[200:201], v[132:135]// 00000000366C: D3F30084 0E139100
	v_mfma_f32_16x16x32_fp8_fp8 v[132:135], a[2:3], v[202:203], v[132:135]// 000000003674: D3F30084 0E139502
	buffer_load_dwordx4 a[120:123], v34, s[92:95], 0 offen offset:2048// 00000000367C: E05C1800 80977822
	v_mfma_f32_16x16x32_fp8_fp8 v[132:135], a[4:5], v[204:205], v[132:135]// 000000003684: D3F30084 0E139904
	v_mfma_f32_16x16x32_fp8_fp8 v[132:135], a[6:7], v[206:207], v[132:135]// 00000000368C: D3F30084 0E139D06
	buffer_load_dword v28, s[20:23], 0 offen lds               // 000000003694: E0511000 8005001C
	s_add_u32 m0, 0x300, s51                                   // 00000000369C: 807C33FF 00000300
	v_mfma_f32_16x16x32_fp8_fp8 v[132:135], a[8:9], v[208:209], v[132:135]// 0000000036A4: D3F30084 0E13A108
	v_mfma_f32_16x16x32_fp8_fp8 v[132:135], a[10:11], v[210:211], v[132:135]// 0000000036AC: D3F30084 0E13A50A
	buffer_load_dwordx4 a[124:127], v34, s[92:95], 0 offen offset:3072// 0000000036B4: E05C1C00 80977C22
	v_mfma_f32_16x16x32_fp8_fp8 v[132:135], a[12:13], v[212:213], v[132:135]// 0000000036BC: D3F30084 0E13A90C
	v_mfma_f32_16x16x32_fp8_fp8 v[132:135], a[14:15], v[214:215], v[132:135]// 0000000036C4: D3F30084 0E13AD0E
	buffer_load_dword v29, s[20:23], 0 offen lds               // 0000000036CC: E0511000 8005001D
	s_add_u32 m0, 0x400, s51                                   // 0000000036D4: 807C33FF 00000400
	v_mfma_f32_16x16x32_fp8_fp8 v[136:139], a[16:17], v[184:185], v[136:139]// 0000000036DC: D3F30088 0E237110
	v_mfma_f32_16x16x32_fp8_fp8 v[136:139], a[18:19], v[186:187], v[136:139]// 0000000036E4: D3F30088 0E237512
	buffer_load_dwordx4 a[128:131], v35, s[92:95], 0 offen     // 0000000036EC: E05C1000 80978023
	v_mfma_f32_16x16x32_fp8_fp8 v[136:139], a[20:21], v[188:189], v[136:139]// 0000000036F4: D3F30088 0E237914
	v_mfma_f32_16x16x32_fp8_fp8 v[136:139], a[22:23], v[190:191], v[136:139]// 0000000036FC: D3F30088 0E237D16
	buffer_load_dword v30, s[20:23], 0 offen lds               // 000000003704: E0511000 8005001E
	s_add_u32 m0, 0x500, s51                                   // 00000000370C: 807C33FF 00000500
	v_mfma_f32_16x16x32_fp8_fp8 v[136:139], a[24:25], v[192:193], v[136:139]// 000000003714: D3F30088 0E238118
	v_mfma_f32_16x16x32_fp8_fp8 v[136:139], a[26:27], v[194:195], v[136:139]// 00000000371C: D3F30088 0E23851A
	buffer_load_dwordx4 a[132:135], v35, s[92:95], 0 offen offset:1024// 000000003724: E05C1400 80978423
	v_mfma_f32_16x16x32_fp8_fp8 v[136:139], a[28:29], v[196:197], v[136:139]// 00000000372C: D3F30088 0E23891C
	v_mfma_f32_16x16x32_fp8_fp8 v[136:139], a[30:31], v[198:199], v[136:139]// 000000003734: D3F30088 0E238D1E
	buffer_load_dword v31, s[20:23], 0 offen lds               // 00000000373C: E0511000 8005001F
	s_add_u32 m0, 0x600, s51                                   // 000000003744: 807C33FF 00000600
	v_mfma_f32_16x16x32_fp8_fp8 v[140:143], a[16:17], v[200:201], v[140:143]// 00000000374C: D3F3008C 0E339110
	v_mfma_f32_16x16x32_fp8_fp8 v[140:143], a[18:19], v[202:203], v[140:143]// 000000003754: D3F3008C 0E339512
	buffer_load_dwordx4 a[136:139], v35, s[92:95], 0 offen offset:2048// 00000000375C: E05C1800 80978823
	v_mfma_f32_16x16x32_fp8_fp8 v[140:143], a[20:21], v[204:205], v[140:143]// 000000003764: D3F3008C 0E339914
	v_mfma_f32_16x16x32_fp8_fp8 v[140:143], a[22:23], v[206:207], v[140:143]// 00000000376C: D3F3008C 0E339D16
	buffer_load_dword v32, s[20:23], 0 offen lds               // 000000003774: E0511000 80050020
	s_add_u32 m0, 0x700, s51                                   // 00000000377C: 807C33FF 00000700
	v_mfma_f32_16x16x32_fp8_fp8 v[140:143], a[24:25], v[208:209], v[140:143]// 000000003784: D3F3008C 0E33A118
	v_mfma_f32_16x16x32_fp8_fp8 v[140:143], a[26:27], v[210:211], v[140:143]// 00000000378C: D3F3008C 0E33A51A
	buffer_load_dwordx4 a[140:143], v35, s[92:95], 0 offen offset:3072// 000000003794: E05C1C00 80978C23
	v_mfma_f32_16x16x32_fp8_fp8 v[140:143], a[28:29], v[212:213], v[140:143]// 00000000379C: D3F3008C 0E33A91C
	v_mfma_f32_16x16x32_fp8_fp8 v[140:143], a[30:31], v[214:215], v[140:143]// 0000000037A4: D3F3008C 0E33AD1E
	buffer_load_dword v33, s[20:23], 0 offen lds               // 0000000037AC: E0511000 80050021
	s_add_u32 m0, 0, s50                                       // 0000000037B4: 807C3280
	s_waitcnt vmcnt(32)                                        // 0000000037B8: BF8C8F70
	v_mfma_f32_16x16x32_fp8_fp8 v[144:147], a[32:33], v[184:185], v[144:147]// 0000000037BC: D3F30090 0E437120
	v_mfma_f32_16x16x32_fp8_fp8 v[144:147], a[34:35], v[186:187], v[144:147]// 0000000037C4: D3F30090 0E437522
	buffer_load_dwordx4 a[144:147], v36, s[92:95], 0 offen     // 0000000037CC: E05C1000 80979024
	v_mfma_f32_16x16x32_fp8_fp8 v[144:147], a[36:37], v[188:189], v[144:147]// 0000000037D4: D3F30090 0E437924
	v_mfma_f32_16x16x32_fp8_fp8 v[144:147], a[38:39], v[190:191], v[144:147]// 0000000037DC: D3F30090 0E437D26
	v_mfma_f32_16x16x32_fp8_fp8 v[144:147], a[40:41], v[192:193], v[144:147]// 0000000037E4: D3F30090 0E438128
	v_mfma_f32_16x16x32_fp8_fp8 v[144:147], a[42:43], v[194:195], v[144:147]// 0000000037EC: D3F30090 0E43852A
	buffer_load_dwordx4 a[148:151], v36, s[92:95], 0 offen offset:1024// 0000000037F4: E05C1400 80979424
	v_mfma_f32_16x16x32_fp8_fp8 v[144:147], a[44:45], v[196:197], v[144:147]// 0000000037FC: D3F30090 0E43892C
	v_mfma_f32_16x16x32_fp8_fp8 v[144:147], a[46:47], v[198:199], v[144:147]// 000000003804: D3F30090 0E438D2E
	v_mfma_f32_16x16x32_fp8_fp8 v[148:151], a[32:33], v[200:201], v[148:151]// 00000000380C: D3F30094 0E539120
	v_mfma_f32_16x16x32_fp8_fp8 v[148:151], a[34:35], v[202:203], v[148:151]// 000000003814: D3F30094 0E539522
	buffer_load_dwordx4 a[152:155], v36, s[92:95], 0 offen offset:2048// 00000000381C: E05C1800 80979824
	v_mfma_f32_16x16x32_fp8_fp8 v[148:151], a[36:37], v[204:205], v[148:151]// 000000003824: D3F30094 0E539924
	v_mfma_f32_16x16x32_fp8_fp8 v[148:151], a[38:39], v[206:207], v[148:151]// 00000000382C: D3F30094 0E539D26
	v_mfma_f32_16x16x32_fp8_fp8 v[148:151], a[40:41], v[208:209], v[148:151]// 000000003834: D3F30094 0E53A128
	v_mfma_f32_16x16x32_fp8_fp8 v[148:151], a[42:43], v[210:211], v[148:151]// 00000000383C: D3F30094 0E53A52A
	buffer_load_dwordx4 a[156:159], v36, s[92:95], 0 offen offset:3072// 000000003844: E05C1C00 80979C24
	v_mfma_f32_16x16x32_fp8_fp8 v[148:151], a[44:45], v[212:213], v[148:151]// 00000000384C: D3F30094 0E53A92C
	v_mfma_f32_16x16x32_fp8_fp8 v[148:151], a[46:47], v[214:215], v[148:151]// 000000003854: D3F30094 0E53AD2E
	s_waitcnt vmcnt(32)                                        // 00000000385C: BF8C8F70
	v_mfma_f32_16x16x32_fp8_fp8 v[152:155], a[48:49], v[184:185], v[152:155]// 000000003860: D3F30098 0E637130
	v_mfma_f32_16x16x32_fp8_fp8 v[152:155], a[50:51], v[186:187], v[152:155]// 000000003868: D3F30098 0E637532
	buffer_load_dwordx4 a[160:163], v37, s[92:95], 0 offen     // 000000003870: E05C1000 8097A025
	v_mfma_f32_16x16x32_fp8_fp8 v[152:155], a[52:53], v[188:189], v[152:155]// 000000003878: D3F30098 0E637934
	v_mfma_f32_16x16x32_fp8_fp8 v[152:155], a[54:55], v[190:191], v[152:155]// 000000003880: D3F30098 0E637D36
	v_mfma_f32_16x16x32_fp8_fp8 v[152:155], a[56:57], v[192:193], v[152:155]// 000000003888: D3F30098 0E638138
	v_mfma_f32_16x16x32_fp8_fp8 v[152:155], a[58:59], v[194:195], v[152:155]// 000000003890: D3F30098 0E63853A
	buffer_load_dwordx4 a[164:167], v37, s[92:95], 0 offen offset:1024// 000000003898: E05C1400 8097A425
	v_mfma_f32_16x16x32_fp8_fp8 v[152:155], a[60:61], v[196:197], v[152:155]// 0000000038A0: D3F30098 0E63893C
	v_mfma_f32_16x16x32_fp8_fp8 v[152:155], a[62:63], v[198:199], v[152:155]// 0000000038A8: D3F30098 0E638D3E
	v_mfma_f32_16x16x32_fp8_fp8 v[156:159], a[48:49], v[200:201], v[156:159]// 0000000038B0: D3F3009C 0E739130
	v_mfma_f32_16x16x32_fp8_fp8 v[156:159], a[50:51], v[202:203], v[156:159]// 0000000038B8: D3F3009C 0E739532
	buffer_load_dwordx4 a[168:171], v37, s[92:95], 0 offen offset:2048// 0000000038C0: E05C1800 8097A825
	v_mfma_f32_16x16x32_fp8_fp8 v[156:159], a[52:53], v[204:205], v[156:159]// 0000000038C8: D3F3009C 0E739934
	v_mfma_f32_16x16x32_fp8_fp8 v[156:159], a[54:55], v[206:207], v[156:159]// 0000000038D0: D3F3009C 0E739D36
	v_mfma_f32_16x16x32_fp8_fp8 v[156:159], a[56:57], v[208:209], v[156:159]// 0000000038D8: D3F3009C 0E73A138
	v_mfma_f32_16x16x32_fp8_fp8 v[156:159], a[58:59], v[210:211], v[156:159]// 0000000038E0: D3F3009C 0E73A53A
	buffer_load_dwordx4 a[172:175], v37, s[92:95], 0 offen offset:3072// 0000000038E8: E05C1C00 8097AC25
	v_mfma_f32_16x16x32_fp8_fp8 v[156:159], a[60:61], v[212:213], v[156:159]// 0000000038F0: D3F3009C 0E73A93C
	v_mfma_f32_16x16x32_fp8_fp8 v[156:159], a[62:63], v[214:215], v[156:159]// 0000000038F8: D3F3009C 0E73AD3E
	s_waitcnt vmcnt(32)                                        // 000000003900: BF8C8F70
	v_mfma_f32_16x16x32_fp8_fp8 v[160:163], a[64:65], v[184:185], v[160:163]// 000000003904: D3F300A0 0E837140
	v_mfma_f32_16x16x32_fp8_fp8 v[160:163], a[66:67], v[186:187], v[160:163]// 00000000390C: D3F300A0 0E837542
	buffer_load_dwordx4 a[176:179], v38, s[92:95], 0 offen     // 000000003914: E05C1000 8097B026
	v_mfma_f32_16x16x32_fp8_fp8 v[160:163], a[68:69], v[188:189], v[160:163]// 00000000391C: D3F300A0 0E837944
	v_mfma_f32_16x16x32_fp8_fp8 v[160:163], a[70:71], v[190:191], v[160:163]// 000000003924: D3F300A0 0E837D46
	v_mfma_f32_16x16x32_fp8_fp8 v[160:163], a[72:73], v[192:193], v[160:163]// 00000000392C: D3F300A0 0E838148
	v_mfma_f32_16x16x32_fp8_fp8 v[160:163], a[74:75], v[194:195], v[160:163]// 000000003934: D3F300A0 0E83854A
	buffer_load_dwordx4 a[180:183], v38, s[92:95], 0 offen offset:1024// 00000000393C: E05C1400 8097B426
	v_mfma_f32_16x16x32_fp8_fp8 v[160:163], a[76:77], v[196:197], v[160:163]// 000000003944: D3F300A0 0E83894C
	v_mfma_f32_16x16x32_fp8_fp8 v[160:163], a[78:79], v[198:199], v[160:163]// 00000000394C: D3F300A0 0E838D4E
	v_mfma_f32_16x16x32_fp8_fp8 v[164:167], a[64:65], v[200:201], v[164:167]// 000000003954: D3F300A4 0E939140
	v_mfma_f32_16x16x32_fp8_fp8 v[164:167], a[66:67], v[202:203], v[164:167]// 00000000395C: D3F300A4 0E939542
	buffer_load_dwordx4 a[184:187], v38, s[92:95], 0 offen offset:2048// 000000003964: E05C1800 8097B826
	v_mfma_f32_16x16x32_fp8_fp8 v[164:167], a[68:69], v[204:205], v[164:167]// 00000000396C: D3F300A4 0E939944
	v_mfma_f32_16x16x32_fp8_fp8 v[164:167], a[70:71], v[206:207], v[164:167]// 000000003974: D3F300A4 0E939D46
	v_mfma_f32_16x16x32_fp8_fp8 v[164:167], a[72:73], v[208:209], v[164:167]// 00000000397C: D3F300A4 0E93A148
	v_mfma_f32_16x16x32_fp8_fp8 v[164:167], a[74:75], v[210:211], v[164:167]// 000000003984: D3F300A4 0E93A54A
	buffer_load_dwordx4 a[188:191], v38, s[92:95], 0 offen offset:3072// 00000000398C: E05C1C00 8097BC26
	v_mfma_f32_16x16x32_fp8_fp8 v[164:167], a[76:77], v[212:213], v[164:167]// 000000003994: D3F300A4 0E93A94C
	v_mfma_f32_16x16x32_fp8_fp8 v[164:167], a[78:79], v[214:215], v[164:167]// 00000000399C: D3F300A4 0E93AD4E
	s_waitcnt vmcnt(32)                                        // 0000000039A4: BF8C8F70
	v_mfma_f32_16x16x32_fp8_fp8 v[168:171], a[80:81], v[184:185], v[168:171]// 0000000039A8: D3F300A8 0EA37150
	v_mfma_f32_16x16x32_fp8_fp8 v[168:171], a[82:83], v[186:187], v[168:171]// 0000000039B0: D3F300A8 0EA37552
	buffer_load_dwordx4 a[192:195], v39, s[92:95], 0 offen     // 0000000039B8: E05C1000 8097C027
	v_mfma_f32_16x16x32_fp8_fp8 v[168:171], a[84:85], v[188:189], v[168:171]// 0000000039C0: D3F300A8 0EA37954
	v_mfma_f32_16x16x32_fp8_fp8 v[168:171], a[86:87], v[190:191], v[168:171]// 0000000039C8: D3F300A8 0EA37D56
	v_mfma_f32_16x16x32_fp8_fp8 v[168:171], a[88:89], v[192:193], v[168:171]// 0000000039D0: D3F300A8 0EA38158
	v_mfma_f32_16x16x32_fp8_fp8 v[168:171], a[90:91], v[194:195], v[168:171]// 0000000039D8: D3F300A8 0EA3855A
	buffer_load_dwordx4 a[196:199], v39, s[92:95], 0 offen offset:1024// 0000000039E0: E05C1400 8097C427
	v_mfma_f32_16x16x32_fp8_fp8 v[168:171], a[92:93], v[196:197], v[168:171]// 0000000039E8: D3F300A8 0EA3895C
	v_mfma_f32_16x16x32_fp8_fp8 v[168:171], a[94:95], v[198:199], v[168:171]// 0000000039F0: D3F300A8 0EA38D5E
	v_mfma_f32_16x16x32_fp8_fp8 v[172:175], a[80:81], v[200:201], v[172:175]// 0000000039F8: D3F300AC 0EB39150
	v_mfma_f32_16x16x32_fp8_fp8 v[172:175], a[82:83], v[202:203], v[172:175]// 000000003A00: D3F300AC 0EB39552
	buffer_load_dwordx4 a[200:203], v39, s[92:95], 0 offen offset:2048// 000000003A08: E05C1800 8097C827
	v_mfma_f32_16x16x32_fp8_fp8 v[172:175], a[84:85], v[204:205], v[172:175]// 000000003A10: D3F300AC 0EB39954
	v_mfma_f32_16x16x32_fp8_fp8 v[172:175], a[86:87], v[206:207], v[172:175]// 000000003A18: D3F300AC 0EB39D56
	v_mfma_f32_16x16x32_fp8_fp8 v[172:175], a[88:89], v[208:209], v[172:175]// 000000003A20: D3F300AC 0EB3A158
	v_mfma_f32_16x16x32_fp8_fp8 v[172:175], a[90:91], v[210:211], v[172:175]// 000000003A28: D3F300AC 0EB3A55A
	buffer_load_dwordx4 a[204:207], v39, s[92:95], 0 offen offset:3072// 000000003A30: E05C1C00 8097CC27
	v_mfma_f32_16x16x32_fp8_fp8 v[172:175], a[92:93], v[212:213], v[172:175]// 000000003A38: D3F300AC 0EB3A95C
	v_mfma_f32_16x16x32_fp8_fp8 v[172:175], a[94:95], v[214:215], v[172:175]// 000000003A40: D3F300AC 0EB3AD5E
	s_waitcnt vmcnt(32)                                        // 000000003A48: BF8C8F70
	v_mfma_f32_16x16x32_fp8_fp8 v[176:179], a[96:97], v[184:185], v[176:179]// 000000003A4C: D3F300B0 0EC37160
	v_mfma_f32_16x16x32_fp8_fp8 v[176:179], a[98:99], v[186:187], v[176:179]// 000000003A54: D3F300B0 0EC37562
	buffer_load_dwordx4 a[208:211], v40, s[92:95], 0 offen     // 000000003A5C: E05C1000 8097D028
	v_mfma_f32_16x16x32_fp8_fp8 v[176:179], a[100:101], v[188:189], v[176:179]// 000000003A64: D3F300B0 0EC37964
	v_mfma_f32_16x16x32_fp8_fp8 v[176:179], a[102:103], v[190:191], v[176:179]// 000000003A6C: D3F300B0 0EC37D66
	v_mfma_f32_16x16x32_fp8_fp8 v[176:179], a[104:105], v[192:193], v[176:179]// 000000003A74: D3F300B0 0EC38168
	v_mfma_f32_16x16x32_fp8_fp8 v[176:179], a[106:107], v[194:195], v[176:179]// 000000003A7C: D3F300B0 0EC3856A
	buffer_load_dwordx4 a[212:215], v40, s[92:95], 0 offen offset:1024// 000000003A84: E05C1400 8097D428
	v_mfma_f32_16x16x32_fp8_fp8 v[176:179], a[108:109], v[196:197], v[176:179]// 000000003A8C: D3F300B0 0EC3896C
	v_mfma_f32_16x16x32_fp8_fp8 v[176:179], a[110:111], v[198:199], v[176:179]// 000000003A94: D3F300B0 0EC38D6E
	v_mfma_f32_16x16x32_fp8_fp8 v[180:183], a[96:97], v[200:201], v[180:183]// 000000003A9C: D3F300B4 0ED39160
	v_mfma_f32_16x16x32_fp8_fp8 v[180:183], a[98:99], v[202:203], v[180:183]// 000000003AA4: D3F300B4 0ED39562
	buffer_load_dwordx4 a[216:219], v40, s[92:95], 0 offen offset:2048// 000000003AAC: E05C1800 8097D828
	v_mfma_f32_16x16x32_fp8_fp8 v[180:183], a[100:101], v[204:205], v[180:183]// 000000003AB4: D3F300B4 0ED39964
	v_mfma_f32_16x16x32_fp8_fp8 v[180:183], a[102:103], v[206:207], v[180:183]// 000000003ABC: D3F300B4 0ED39D66
	v_mfma_f32_16x16x32_fp8_fp8 v[180:183], a[104:105], v[208:209], v[180:183]// 000000003AC4: D3F300B4 0ED3A168
	v_mfma_f32_16x16x32_fp8_fp8 v[180:183], a[106:107], v[210:211], v[180:183]// 000000003ACC: D3F300B4 0ED3A56A
	buffer_load_dwordx4 a[220:223], v40, s[92:95], 0 offen offset:3072// 000000003AD4: E05C1C00 8097DC28
	v_mfma_f32_16x16x32_fp8_fp8 v[180:183], a[108:109], v[212:213], v[180:183]// 000000003ADC: D3F300B4 0ED3A96C
	v_mfma_f32_16x16x32_fp8_fp8 v[180:183], a[110:111], v[214:215], v[180:183]// 000000003AE4: D3F300B4 0ED3AD6E
	s_waitcnt vmcnt(20)                                        // 000000003AEC: BF8C4F74
	s_barrier                                                  // 000000003AF0: BF8A0000
	v_mfma_f32_16x16x32_fp8_fp8 v[64:67], a[112:113], v[184:185], v[64:67]// 000000003AF4: D3F30040 0D037170
	v_mfma_f32_16x16x32_fp8_fp8 v[64:67], a[114:115], v[186:187], v[64:67]// 000000003AFC: D3F30040 0D037572
	buffer_load_dwordx4 a[0:3], v34, s[24:27], 0 offen         // 000000003B04: E05C1000 80860022
	v_mfma_f32_16x16x32_fp8_fp8 v[64:67], a[116:117], v[188:189], v[64:67]// 000000003B0C: D3F30040 0D037974
	v_mfma_f32_16x16x32_fp8_fp8 v[64:67], a[118:119], v[190:191], v[64:67]// 000000003B14: D3F30040 0D037D76
	v_mfma_f32_16x16x32_fp8_fp8 v[64:67], a[120:121], v[192:193], v[64:67]// 000000003B1C: D3F30040 0D038178
	v_mfma_f32_16x16x32_fp8_fp8 v[64:67], a[122:123], v[194:195], v[64:67]// 000000003B24: D3F30040 0D03857A
	buffer_load_dwordx4 a[4:7], v34, s[24:27], 0 offen offset:1024// 000000003B2C: E05C1400 80860422
	v_mfma_f32_16x16x32_fp8_fp8 v[64:67], a[124:125], v[196:197], v[64:67]// 000000003B34: D3F30040 0D03897C
	v_mfma_f32_16x16x32_fp8_fp8 v[64:67], a[126:127], v[198:199], v[64:67]// 000000003B3C: D3F30040 0D038D7E
	v_mfma_f32_16x16x32_fp8_fp8 v[68:71], a[112:113], v[200:201], v[68:71]// 000000003B44: D3F30044 0D139170
	v_mfma_f32_16x16x32_fp8_fp8 v[68:71], a[114:115], v[202:203], v[68:71]// 000000003B4C: D3F30044 0D139572
	buffer_load_dwordx4 a[8:11], v34, s[24:27], 0 offen offset:2048// 000000003B54: E05C1800 80860822
	v_mfma_f32_16x16x32_fp8_fp8 v[68:71], a[116:117], v[204:205], v[68:71]// 000000003B5C: D3F30044 0D139974
	v_mfma_f32_16x16x32_fp8_fp8 v[68:71], a[118:119], v[206:207], v[68:71]// 000000003B64: D3F30044 0D139D76
	v_mfma_f32_16x16x32_fp8_fp8 v[68:71], a[120:121], v[208:209], v[68:71]// 000000003B6C: D3F30044 0D13A178
	v_mfma_f32_16x16x32_fp8_fp8 v[68:71], a[122:123], v[210:211], v[68:71]// 000000003B74: D3F30044 0D13A57A
	buffer_load_dwordx4 a[12:15], v34, s[24:27], 0 offen offset:3072// 000000003B7C: E05C1C00 80860C22
	v_mfma_f32_16x16x32_fp8_fp8 v[68:71], a[124:125], v[212:213], v[68:71]// 000000003B84: D3F30044 0D13A97C
	v_mfma_f32_16x16x32_fp8_fp8 v[68:71], a[126:127], v[214:215], v[68:71]// 000000003B8C: D3F30044 0D13AD7E
	v_mfma_f32_16x16x32_fp8_fp8 v[72:75], a[128:129], v[184:185], v[72:75]// 000000003B94: D3F30048 0D237180
	v_mfma_f32_16x16x32_fp8_fp8 v[72:75], a[130:131], v[186:187], v[72:75]// 000000003B9C: D3F30048 0D237582
	buffer_load_dwordx4 a[16:19], v35, s[24:27], 0 offen       // 000000003BA4: E05C1000 80861023
	v_mfma_f32_16x16x32_fp8_fp8 v[72:75], a[132:133], v[188:189], v[72:75]// 000000003BAC: D3F30048 0D237984
	v_mfma_f32_16x16x32_fp8_fp8 v[72:75], a[134:135], v[190:191], v[72:75]// 000000003BB4: D3F30048 0D237D86
	v_mfma_f32_16x16x32_fp8_fp8 v[72:75], a[136:137], v[192:193], v[72:75]// 000000003BBC: D3F30048 0D238188
	v_mfma_f32_16x16x32_fp8_fp8 v[72:75], a[138:139], v[194:195], v[72:75]// 000000003BC4: D3F30048 0D23858A
	buffer_load_dwordx4 a[20:23], v35, s[24:27], 0 offen offset:1024// 000000003BCC: E05C1400 80861423
	v_mfma_f32_16x16x32_fp8_fp8 v[72:75], a[140:141], v[196:197], v[72:75]// 000000003BD4: D3F30048 0D23898C
	v_mfma_f32_16x16x32_fp8_fp8 v[72:75], a[142:143], v[198:199], v[72:75]// 000000003BDC: D3F30048 0D238D8E
	v_mfma_f32_16x16x32_fp8_fp8 v[76:79], a[128:129], v[200:201], v[76:79]// 000000003BE4: D3F3004C 0D339180
	v_mfma_f32_16x16x32_fp8_fp8 v[76:79], a[130:131], v[202:203], v[76:79]// 000000003BEC: D3F3004C 0D339582
	buffer_load_dwordx4 a[24:27], v35, s[24:27], 0 offen offset:2048// 000000003BF4: E05C1800 80861823
	v_mfma_f32_16x16x32_fp8_fp8 v[76:79], a[132:133], v[204:205], v[76:79]// 000000003BFC: D3F3004C 0D339984
	v_mfma_f32_16x16x32_fp8_fp8 v[76:79], a[134:135], v[206:207], v[76:79]// 000000003C04: D3F3004C 0D339D86
	v_mfma_f32_16x16x32_fp8_fp8 v[76:79], a[136:137], v[208:209], v[76:79]// 000000003C0C: D3F3004C 0D33A188
	v_mfma_f32_16x16x32_fp8_fp8 v[76:79], a[138:139], v[210:211], v[76:79]// 000000003C14: D3F3004C 0D33A58A
	buffer_load_dwordx4 a[28:31], v35, s[24:27], 0 offen offset:3072// 000000003C1C: E05C1C00 80861C23
	v_mfma_f32_16x16x32_fp8_fp8 v[76:79], a[140:141], v[212:213], v[76:79]// 000000003C24: D3F3004C 0D33A98C
	v_mfma_f32_16x16x32_fp8_fp8 v[76:79], a[142:143], v[214:215], v[76:79]// 000000003C2C: D3F3004C 0D33AD8E
	s_waitcnt vmcnt(24)                                        // 000000003C34: BF8C4F78
	v_mfma_f32_16x16x32_fp8_fp8 v[80:83], a[144:145], v[184:185], v[80:83]// 000000003C38: D3F30050 0D437190
	v_mfma_f32_16x16x32_fp8_fp8 v[80:83], a[146:147], v[186:187], v[80:83]// 000000003C40: D3F30050 0D437592
	buffer_load_dwordx4 a[32:35], v36, s[24:27], 0 offen       // 000000003C48: E05C1000 80862024
	v_mfma_f32_16x16x32_fp8_fp8 v[80:83], a[148:149], v[188:189], v[80:83]// 000000003C50: D3F30050 0D437994
	v_mfma_f32_16x16x32_fp8_fp8 v[80:83], a[150:151], v[190:191], v[80:83]// 000000003C58: D3F30050 0D437D96
	ds_read_b128 v[216:219], v2 offset:8320                    // 000000003C60: D9FE2080 D8000002
	v_mfma_f32_16x16x32_fp8_fp8 v[80:83], a[152:153], v[192:193], v[80:83]// 000000003C68: D3F30050 0D438198
	v_mfma_f32_16x16x32_fp8_fp8 v[80:83], a[154:155], v[194:195], v[80:83]// 000000003C70: D3F30050 0D43859A
	buffer_load_dwordx4 a[36:39], v36, s[24:27], 0 offen offset:1024// 000000003C78: E05C1400 80862424
	v_mfma_f32_16x16x32_fp8_fp8 v[80:83], a[156:157], v[196:197], v[80:83]// 000000003C80: D3F30050 0D43899C
	v_mfma_f32_16x16x32_fp8_fp8 v[80:83], a[158:159], v[198:199], v[80:83]// 000000003C88: D3F30050 0D438D9E
	ds_read_b128 v[220:223], v2 offset:8384                    // 000000003C90: D9FE20C0 DC000002
	v_mfma_f32_16x16x32_fp8_fp8 v[84:87], a[144:145], v[200:201], v[84:87]// 000000003C98: D3F30054 0D539190
	v_mfma_f32_16x16x32_fp8_fp8 v[84:87], a[146:147], v[202:203], v[84:87]// 000000003CA0: D3F30054 0D539592
	buffer_load_dwordx4 a[40:43], v36, s[24:27], 0 offen offset:2048// 000000003CA8: E05C1800 80862824
	v_mfma_f32_16x16x32_fp8_fp8 v[84:87], a[148:149], v[204:205], v[84:87]// 000000003CB0: D3F30054 0D539994
	v_mfma_f32_16x16x32_fp8_fp8 v[84:87], a[150:151], v[206:207], v[84:87]// 000000003CB8: D3F30054 0D539D96
	ds_read_b128 v[224:227], v2 offset:8448                    // 000000003CC0: D9FE2100 E0000002
	v_mfma_f32_16x16x32_fp8_fp8 v[84:87], a[152:153], v[208:209], v[84:87]// 000000003CC8: D3F30054 0D53A198
	v_mfma_f32_16x16x32_fp8_fp8 v[84:87], a[154:155], v[210:211], v[84:87]// 000000003CD0: D3F30054 0D53A59A
	buffer_load_dwordx4 a[44:47], v36, s[24:27], 0 offen offset:3072// 000000003CD8: E05C1C00 80862C24
	v_mfma_f32_16x16x32_fp8_fp8 v[84:87], a[156:157], v[212:213], v[84:87]// 000000003CE0: D3F30054 0D53A99C
	v_mfma_f32_16x16x32_fp8_fp8 v[84:87], a[158:159], v[214:215], v[84:87]// 000000003CE8: D3F30054 0D53AD9E
	ds_read_b128 v[228:231], v2 offset:8512                    // 000000003CF0: D9FE2140 E4000002
	s_waitcnt vmcnt(24)                                        // 000000003CF8: BF8C4F78
	v_mfma_f32_16x16x32_fp8_fp8 v[88:91], a[160:161], v[184:185], v[88:91]// 000000003CFC: D3F30058 0D6371A0
	v_mfma_f32_16x16x32_fp8_fp8 v[88:91], a[162:163], v[186:187], v[88:91]// 000000003D04: D3F30058 0D6375A2
	buffer_load_dwordx4 a[48:51], v37, s[24:27], 0 offen       // 000000003D0C: E05C1000 80863025
	v_mfma_f32_16x16x32_fp8_fp8 v[88:91], a[164:165], v[188:189], v[88:91]// 000000003D14: D3F30058 0D6379A4
	v_mfma_f32_16x16x32_fp8_fp8 v[88:91], a[166:167], v[190:191], v[88:91]// 000000003D1C: D3F30058 0D637DA6
	ds_read_b128 v[232:235], v2 offset:9344                    // 000000003D24: D9FE2480 E8000002
	v_mfma_f32_16x16x32_fp8_fp8 v[88:91], a[168:169], v[192:193], v[88:91]// 000000003D2C: D3F30058 0D6381A8
	v_mfma_f32_16x16x32_fp8_fp8 v[88:91], a[170:171], v[194:195], v[88:91]// 000000003D34: D3F30058 0D6385AA
	buffer_load_dwordx4 a[52:55], v37, s[24:27], 0 offen offset:1024// 000000003D3C: E05C1400 80863425
	v_mfma_f32_16x16x32_fp8_fp8 v[88:91], a[172:173], v[196:197], v[88:91]// 000000003D44: D3F30058 0D6389AC
	v_mfma_f32_16x16x32_fp8_fp8 v[88:91], a[174:175], v[198:199], v[88:91]// 000000003D4C: D3F30058 0D638DAE
	ds_read_b128 v[236:239], v2 offset:9408                    // 000000003D54: D9FE24C0 EC000002
	v_mfma_f32_16x16x32_fp8_fp8 v[92:95], a[160:161], v[200:201], v[92:95]// 000000003D5C: D3F3005C 0D7391A0
	v_mfma_f32_16x16x32_fp8_fp8 v[92:95], a[162:163], v[202:203], v[92:95]// 000000003D64: D3F3005C 0D7395A2
	buffer_load_dwordx4 a[56:59], v37, s[24:27], 0 offen offset:2048// 000000003D6C: E05C1800 80863825
	v_mfma_f32_16x16x32_fp8_fp8 v[92:95], a[164:165], v[204:205], v[92:95]// 000000003D74: D3F3005C 0D7399A4
	v_mfma_f32_16x16x32_fp8_fp8 v[92:95], a[166:167], v[206:207], v[92:95]// 000000003D7C: D3F3005C 0D739DA6
	ds_read_b128 v[240:243], v2 offset:9472                    // 000000003D84: D9FE2500 F0000002
	v_mfma_f32_16x16x32_fp8_fp8 v[92:95], a[168:169], v[208:209], v[92:95]// 000000003D8C: D3F3005C 0D73A1A8
	v_mfma_f32_16x16x32_fp8_fp8 v[92:95], a[170:171], v[210:211], v[92:95]// 000000003D94: D3F3005C 0D73A5AA
	buffer_load_dwordx4 a[60:63], v37, s[24:27], 0 offen offset:3072// 000000003D9C: E05C1C00 80863C25
	v_mfma_f32_16x16x32_fp8_fp8 v[92:95], a[172:173], v[212:213], v[92:95]// 000000003DA4: D3F3005C 0D73A9AC
	v_mfma_f32_16x16x32_fp8_fp8 v[92:95], a[174:175], v[214:215], v[92:95]// 000000003DAC: D3F3005C 0D73ADAE
	ds_read_b128 v[244:247], v2 offset:9536                    // 000000003DB4: D9FE2540 F4000002
	s_waitcnt vmcnt(24)                                        // 000000003DBC: BF8C4F78
	v_mfma_f32_16x16x32_fp8_fp8 v[96:99], a[176:177], v[184:185], v[96:99]// 000000003DC0: D3F30060 0D8371B0
	v_mfma_f32_16x16x32_fp8_fp8 v[96:99], a[178:179], v[186:187], v[96:99]// 000000003DC8: D3F30060 0D8375B2
	buffer_load_dwordx4 a[64:67], v38, s[24:27], 0 offen       // 000000003DD0: E05C1000 80864026
	v_mfma_f32_16x16x32_fp8_fp8 v[96:99], a[180:181], v[188:189], v[96:99]// 000000003DD8: D3F30060 0D8379B4
	v_mfma_f32_16x16x32_fp8_fp8 v[96:99], a[182:183], v[190:191], v[96:99]// 000000003DE0: D3F30060 0D837DB6
	v_mfma_f32_16x16x32_fp8_fp8 v[96:99], a[184:185], v[192:193], v[96:99]// 000000003DE8: D3F30060 0D8381B8
	v_mfma_f32_16x16x32_fp8_fp8 v[96:99], a[186:187], v[194:195], v[96:99]// 000000003DF0: D3F30060 0D8385BA
	buffer_load_dwordx4 a[68:71], v38, s[24:27], 0 offen offset:1024// 000000003DF8: E05C1400 80864426
	v_mfma_f32_16x16x32_fp8_fp8 v[96:99], a[188:189], v[196:197], v[96:99]// 000000003E00: D3F30060 0D8389BC
	v_mfma_f32_16x16x32_fp8_fp8 v[96:99], a[190:191], v[198:199], v[96:99]// 000000003E08: D3F30060 0D838DBE
	v_mfma_f32_16x16x32_fp8_fp8 v[100:103], a[176:177], v[200:201], v[100:103]// 000000003E10: D3F30064 0D9391B0
	v_mfma_f32_16x16x32_fp8_fp8 v[100:103], a[178:179], v[202:203], v[100:103]// 000000003E18: D3F30064 0D9395B2
	buffer_load_dwordx4 a[72:75], v38, s[24:27], 0 offen offset:2048// 000000003E20: E05C1800 80864826
	v_mfma_f32_16x16x32_fp8_fp8 v[100:103], a[180:181], v[204:205], v[100:103]// 000000003E28: D3F30064 0D9399B4
	v_mfma_f32_16x16x32_fp8_fp8 v[100:103], a[182:183], v[206:207], v[100:103]// 000000003E30: D3F30064 0D939DB6
	v_mfma_f32_16x16x32_fp8_fp8 v[100:103], a[184:185], v[208:209], v[100:103]// 000000003E38: D3F30064 0D93A1B8
	v_mfma_f32_16x16x32_fp8_fp8 v[100:103], a[186:187], v[210:211], v[100:103]// 000000003E40: D3F30064 0D93A5BA
	buffer_load_dwordx4 a[76:79], v38, s[24:27], 0 offen offset:3072// 000000003E48: E05C1C00 80864C26
	v_mfma_f32_16x16x32_fp8_fp8 v[100:103], a[188:189], v[212:213], v[100:103]// 000000003E50: D3F30064 0D93A9BC
	v_mfma_f32_16x16x32_fp8_fp8 v[100:103], a[190:191], v[214:215], v[100:103]// 000000003E58: D3F30064 0D93ADBE
	s_waitcnt vmcnt(24)                                        // 000000003E60: BF8C4F78
	v_mfma_f32_16x16x32_fp8_fp8 v[104:107], a[192:193], v[184:185], v[104:107]// 000000003E64: D3F30068 0DA371C0
	v_mfma_f32_16x16x32_fp8_fp8 v[104:107], a[194:195], v[186:187], v[104:107]// 000000003E6C: D3F30068 0DA375C2
	buffer_load_dwordx4 a[80:83], v39, s[24:27], 0 offen       // 000000003E74: E05C1000 80865027
	v_mfma_f32_16x16x32_fp8_fp8 v[104:107], a[196:197], v[188:189], v[104:107]// 000000003E7C: D3F30068 0DA379C4
	v_mfma_f32_16x16x32_fp8_fp8 v[104:107], a[198:199], v[190:191], v[104:107]// 000000003E84: D3F30068 0DA37DC6
	v_mfma_f32_16x16x32_fp8_fp8 v[104:107], a[200:201], v[192:193], v[104:107]// 000000003E8C: D3F30068 0DA381C8
	v_mfma_f32_16x16x32_fp8_fp8 v[104:107], a[202:203], v[194:195], v[104:107]// 000000003E94: D3F30068 0DA385CA
	buffer_load_dwordx4 a[84:87], v39, s[24:27], 0 offen offset:1024// 000000003E9C: E05C1400 80865427
	v_mfma_f32_16x16x32_fp8_fp8 v[104:107], a[204:205], v[196:197], v[104:107]// 000000003EA4: D3F30068 0DA389CC
	v_mfma_f32_16x16x32_fp8_fp8 v[104:107], a[206:207], v[198:199], v[104:107]// 000000003EAC: D3F30068 0DA38DCE
	v_mfma_f32_16x16x32_fp8_fp8 v[108:111], a[192:193], v[200:201], v[108:111]// 000000003EB4: D3F3006C 0DB391C0
	v_mfma_f32_16x16x32_fp8_fp8 v[108:111], a[194:195], v[202:203], v[108:111]// 000000003EBC: D3F3006C 0DB395C2
	buffer_load_dwordx4 a[88:91], v39, s[24:27], 0 offen offset:2048// 000000003EC4: E05C1800 80865827
	v_mfma_f32_16x16x32_fp8_fp8 v[108:111], a[196:197], v[204:205], v[108:111]// 000000003ECC: D3F3006C 0DB399C4
	v_mfma_f32_16x16x32_fp8_fp8 v[108:111], a[198:199], v[206:207], v[108:111]// 000000003ED4: D3F3006C 0DB39DC6
	v_mfma_f32_16x16x32_fp8_fp8 v[108:111], a[200:201], v[208:209], v[108:111]// 000000003EDC: D3F3006C 0DB3A1C8
	v_mfma_f32_16x16x32_fp8_fp8 v[108:111], a[202:203], v[210:211], v[108:111]// 000000003EE4: D3F3006C 0DB3A5CA
	buffer_load_dwordx4 a[92:95], v39, s[24:27], 0 offen offset:3072// 000000003EEC: E05C1C00 80865C27
	v_mfma_f32_16x16x32_fp8_fp8 v[108:111], a[204:205], v[212:213], v[108:111]// 000000003EF4: D3F3006C 0DB3A9CC
	v_mfma_f32_16x16x32_fp8_fp8 v[108:111], a[206:207], v[214:215], v[108:111]// 000000003EFC: D3F3006C 0DB3ADCE
	s_waitcnt vmcnt(24)                                        // 000000003F04: BF8C4F78
	v_mfma_f32_16x16x32_fp8_fp8 v[112:115], a[208:209], v[184:185], v[112:115]// 000000003F08: D3F30070 0DC371D0
	v_mfma_f32_16x16x32_fp8_fp8 v[112:115], a[210:211], v[186:187], v[112:115]// 000000003F10: D3F30070 0DC375D2
	buffer_load_dwordx4 a[96:99], v40, s[24:27], 0 offen       // 000000003F18: E05C1000 80866028
	v_mfma_f32_16x16x32_fp8_fp8 v[112:115], a[212:213], v[188:189], v[112:115]// 000000003F20: D3F30070 0DC379D4
	v_mfma_f32_16x16x32_fp8_fp8 v[112:115], a[214:215], v[190:191], v[112:115]// 000000003F28: D3F30070 0DC37DD6
	v_mfma_f32_16x16x32_fp8_fp8 v[112:115], a[216:217], v[192:193], v[112:115]// 000000003F30: D3F30070 0DC381D8
	v_mfma_f32_16x16x32_fp8_fp8 v[112:115], a[218:219], v[194:195], v[112:115]// 000000003F38: D3F30070 0DC385DA
	buffer_load_dwordx4 a[100:103], v40, s[24:27], 0 offen offset:1024// 000000003F40: E05C1400 80866428
	v_mfma_f32_16x16x32_fp8_fp8 v[112:115], a[220:221], v[196:197], v[112:115]// 000000003F48: D3F30070 0DC389DC
	v_mfma_f32_16x16x32_fp8_fp8 v[112:115], a[222:223], v[198:199], v[112:115]// 000000003F50: D3F30070 0DC38DDE
	v_mfma_f32_16x16x32_fp8_fp8 v[116:119], a[208:209], v[200:201], v[116:119]// 000000003F58: D3F30074 0DD391D0
	v_mfma_f32_16x16x32_fp8_fp8 v[116:119], a[210:211], v[202:203], v[116:119]// 000000003F60: D3F30074 0DD395D2
	buffer_load_dwordx4 a[104:107], v40, s[24:27], 0 offen offset:2048// 000000003F68: E05C1800 80866828
	v_mfma_f32_16x16x32_fp8_fp8 v[116:119], a[212:213], v[204:205], v[116:119]// 000000003F70: D3F30074 0DD399D4
	v_mfma_f32_16x16x32_fp8_fp8 v[116:119], a[214:215], v[206:207], v[116:119]// 000000003F78: D3F30074 0DD39DD6
	v_mfma_f32_16x16x32_fp8_fp8 v[116:119], a[216:217], v[208:209], v[116:119]// 000000003F80: D3F30074 0DD3A1D8
	v_mfma_f32_16x16x32_fp8_fp8 v[116:119], a[218:219], v[210:211], v[116:119]// 000000003F88: D3F30074 0DD3A5DA
	buffer_load_dwordx4 a[108:111], v40, s[24:27], 0 offen offset:3072// 000000003F90: E05C1C00 80866C28
	v_mfma_f32_16x16x32_fp8_fp8 v[116:119], a[220:221], v[212:213], v[116:119]// 000000003F98: D3F30074 0DD3A9DC
	v_mfma_f32_16x16x32_fp8_fp8 v[116:119], a[222:223], v[214:215], v[116:119]// 000000003FA0: D3F30074 0DD3ADDE
	s_add_u32 s60, 0x200, s80                                  // 000000003FA8: 803C50FF 00000200
	s_cmp_lt_u32 s60, s81                                      // 000000003FB0: BF0A513C
	s_cselect_b32 s57, s57, 0                                  // 000000003FB4: 85398039
	s_add_u32 s60, 0x200, s80                                  // 000000003FB8: 803C50FF 00000200
	s_cmp_lt_u32 s60, s81                                      // 000000003FC0: BF0A513C
	s_cselect_b32 s58, s58, 0                                  // 000000003FC4: 853A803A
	s_add_u32 s20, s57, s20                                    // 000000003FC8: 80141439
	s_addc_u32 s21, 0, s21                                     // 000000003FCC: 82151580
	s_add_u32 s24, s58, s24                                    // 000000003FD0: 8018183A
	s_addc_u32 s25, 0, s25                                     // 000000003FD4: 82191980
	s_add_u32 s92, s90, s92                                    // 000000003FD8: 805C5C5A
	s_addc_u32 s93, 0, s93                                     // 000000003FDC: 825D5D80
	s_addk_i32 s80, 0x100                                      // 000000003FE0: B7500100
	s_cmp_lt_i32 s80, s81                                      // 000000003FE4: BF045150
	s_cbranch_scc0 label_07BA                                  // 000000003FE8: BF84027F
	s_waitcnt vmcnt(20) lgkmcnt(0)                             // 000000003FEC: BF8C4074
	s_barrier                                                  // 000000003FF0: BF8A0000
	v_mfma_f32_16x16x32_fp8_fp8 v[128:131], a[0:1], v[216:217], v[128:131]// 000000003FF4: D3F30080 0E03B100
	v_mfma_f32_16x16x32_fp8_fp8 v[128:131], a[2:3], v[218:219], v[128:131]// 000000003FFC: D3F30080 0E03B502
	buffer_load_dwordx4 a[112:115], v34, s[92:95], 0 offen     // 000000004004: E05C1000 80977022
	v_mfma_f32_16x16x32_fp8_fp8 v[128:131], a[4:5], v[220:221], v[128:131]// 00000000400C: D3F30080 0E03B904
	v_mfma_f32_16x16x32_fp8_fp8 v[128:131], a[6:7], v[222:223], v[128:131]// 000000004014: D3F30080 0E03BD06
	buffer_load_dword v26, s[20:23], 0 offen lds               // 00000000401C: E0511000 8005001A
	s_add_u32 m0, 0x100, s50                                   // 000000004024: 807C32FF 00000100
	v_mfma_f32_16x16x32_fp8_fp8 v[128:131], a[8:9], v[224:225], v[128:131]// 00000000402C: D3F30080 0E03C108
	v_mfma_f32_16x16x32_fp8_fp8 v[128:131], a[10:11], v[226:227], v[128:131]// 000000004034: D3F30080 0E03C50A
	buffer_load_dwordx4 a[116:119], v34, s[92:95], 0 offen offset:1024// 00000000403C: E05C1400 80977422
	v_mfma_f32_16x16x32_fp8_fp8 v[128:131], a[12:13], v[228:229], v[128:131]// 000000004044: D3F30080 0E03C90C
	v_mfma_f32_16x16x32_fp8_fp8 v[128:131], a[14:15], v[230:231], v[128:131]// 00000000404C: D3F30080 0E03CD0E
	buffer_load_dword v27, s[20:23], 0 offen lds               // 000000004054: E0511000 8005001B
	s_add_u32 m0, 0x200, s50                                   // 00000000405C: 807C32FF 00000200
	v_mfma_f32_16x16x32_fp8_fp8 v[132:135], a[0:1], v[232:233], v[132:135]// 000000004064: D3F30084 0E13D100
	v_mfma_f32_16x16x32_fp8_fp8 v[132:135], a[2:3], v[234:235], v[132:135]// 00000000406C: D3F30084 0E13D502
	buffer_load_dwordx4 a[120:123], v34, s[92:95], 0 offen offset:2048// 000000004074: E05C1800 80977822
	v_mfma_f32_16x16x32_fp8_fp8 v[132:135], a[4:5], v[236:237], v[132:135]// 00000000407C: D3F30084 0E13D904
	v_mfma_f32_16x16x32_fp8_fp8 v[132:135], a[6:7], v[238:239], v[132:135]// 000000004084: D3F30084 0E13DD06
	buffer_load_dword v28, s[20:23], 0 offen lds               // 00000000408C: E0511000 8005001C
	s_add_u32 m0, 0x300, s50                                   // 000000004094: 807C32FF 00000300
	v_mfma_f32_16x16x32_fp8_fp8 v[132:135], a[8:9], v[240:241], v[132:135]// 00000000409C: D3F30084 0E13E108
	v_mfma_f32_16x16x32_fp8_fp8 v[132:135], a[10:11], v[242:243], v[132:135]// 0000000040A4: D3F30084 0E13E50A
	buffer_load_dwordx4 a[124:127], v34, s[92:95], 0 offen offset:3072// 0000000040AC: E05C1C00 80977C22
	v_mfma_f32_16x16x32_fp8_fp8 v[132:135], a[12:13], v[244:245], v[132:135]// 0000000040B4: D3F30084 0E13E90C
	v_mfma_f32_16x16x32_fp8_fp8 v[132:135], a[14:15], v[246:247], v[132:135]// 0000000040BC: D3F30084 0E13ED0E
	buffer_load_dword v29, s[20:23], 0 offen lds               // 0000000040C4: E0511000 8005001D
	s_add_u32 m0, 0x400, s50                                   // 0000000040CC: 807C32FF 00000400
	v_mfma_f32_16x16x32_fp8_fp8 v[136:139], a[16:17], v[216:217], v[136:139]// 0000000040D4: D3F30088 0E23B110
	v_mfma_f32_16x16x32_fp8_fp8 v[136:139], a[18:19], v[218:219], v[136:139]// 0000000040DC: D3F30088 0E23B512
	buffer_load_dwordx4 a[128:131], v35, s[92:95], 0 offen     // 0000000040E4: E05C1000 80978023
	v_mfma_f32_16x16x32_fp8_fp8 v[136:139], a[20:21], v[220:221], v[136:139]// 0000000040EC: D3F30088 0E23B914
	v_mfma_f32_16x16x32_fp8_fp8 v[136:139], a[22:23], v[222:223], v[136:139]// 0000000040F4: D3F30088 0E23BD16
	buffer_load_dword v30, s[20:23], 0 offen lds               // 0000000040FC: E0511000 8005001E
	s_add_u32 m0, 0x500, s50                                   // 000000004104: 807C32FF 00000500
	v_mfma_f32_16x16x32_fp8_fp8 v[136:139], a[24:25], v[224:225], v[136:139]// 00000000410C: D3F30088 0E23C118
	v_mfma_f32_16x16x32_fp8_fp8 v[136:139], a[26:27], v[226:227], v[136:139]// 000000004114: D3F30088 0E23C51A
	buffer_load_dwordx4 a[132:135], v35, s[92:95], 0 offen offset:1024// 00000000411C: E05C1400 80978423
	v_mfma_f32_16x16x32_fp8_fp8 v[136:139], a[28:29], v[228:229], v[136:139]// 000000004124: D3F30088 0E23C91C
	v_mfma_f32_16x16x32_fp8_fp8 v[136:139], a[30:31], v[230:231], v[136:139]// 00000000412C: D3F30088 0E23CD1E
	buffer_load_dword v31, s[20:23], 0 offen lds               // 000000004134: E0511000 8005001F
	s_add_u32 m0, 0x600, s50                                   // 00000000413C: 807C32FF 00000600
	v_mfma_f32_16x16x32_fp8_fp8 v[140:143], a[16:17], v[232:233], v[140:143]// 000000004144: D3F3008C 0E33D110
	v_mfma_f32_16x16x32_fp8_fp8 v[140:143], a[18:19], v[234:235], v[140:143]// 00000000414C: D3F3008C 0E33D512
	buffer_load_dwordx4 a[136:139], v35, s[92:95], 0 offen offset:2048// 000000004154: E05C1800 80978823
	v_mfma_f32_16x16x32_fp8_fp8 v[140:143], a[20:21], v[236:237], v[140:143]// 00000000415C: D3F3008C 0E33D914
	v_mfma_f32_16x16x32_fp8_fp8 v[140:143], a[22:23], v[238:239], v[140:143]// 000000004164: D3F3008C 0E33DD16
	buffer_load_dword v32, s[20:23], 0 offen lds               // 00000000416C: E0511000 80050020
	s_add_u32 m0, 0x700, s50                                   // 000000004174: 807C32FF 00000700
	v_mfma_f32_16x16x32_fp8_fp8 v[140:143], a[24:25], v[240:241], v[140:143]// 00000000417C: D3F3008C 0E33E118
	v_mfma_f32_16x16x32_fp8_fp8 v[140:143], a[26:27], v[242:243], v[140:143]// 000000004184: D3F3008C 0E33E51A
	buffer_load_dwordx4 a[140:143], v35, s[92:95], 0 offen offset:3072// 00000000418C: E05C1C00 80978C23
	v_mfma_f32_16x16x32_fp8_fp8 v[140:143], a[28:29], v[244:245], v[140:143]// 000000004194: D3F3008C 0E33E91C
	v_mfma_f32_16x16x32_fp8_fp8 v[140:143], a[30:31], v[246:247], v[140:143]// 00000000419C: D3F3008C 0E33ED1E
	buffer_load_dword v33, s[20:23], 0 offen lds               // 0000000041A4: E0511000 80050021
	s_add_u32 m0, 0, s51                                       // 0000000041AC: 807C3380
	s_waitcnt vmcnt(32)                                        // 0000000041B0: BF8C8F70
	v_mfma_f32_16x16x32_fp8_fp8 v[144:147], a[32:33], v[216:217], v[144:147]// 0000000041B4: D3F30090 0E43B120
	v_mfma_f32_16x16x32_fp8_fp8 v[144:147], a[34:35], v[218:219], v[144:147]// 0000000041BC: D3F30090 0E43B522
	buffer_load_dwordx4 a[144:147], v36, s[92:95], 0 offen     // 0000000041C4: E05C1000 80979024
	v_mfma_f32_16x16x32_fp8_fp8 v[144:147], a[36:37], v[220:221], v[144:147]// 0000000041CC: D3F30090 0E43B924
	v_mfma_f32_16x16x32_fp8_fp8 v[144:147], a[38:39], v[222:223], v[144:147]// 0000000041D4: D3F30090 0E43BD26
	v_mfma_f32_16x16x32_fp8_fp8 v[144:147], a[40:41], v[224:225], v[144:147]// 0000000041DC: D3F30090 0E43C128
	v_mfma_f32_16x16x32_fp8_fp8 v[144:147], a[42:43], v[226:227], v[144:147]// 0000000041E4: D3F30090 0E43C52A
	buffer_load_dwordx4 a[148:151], v36, s[92:95], 0 offen offset:1024// 0000000041EC: E05C1400 80979424
	v_mfma_f32_16x16x32_fp8_fp8 v[144:147], a[44:45], v[228:229], v[144:147]// 0000000041F4: D3F30090 0E43C92C
	v_mfma_f32_16x16x32_fp8_fp8 v[144:147], a[46:47], v[230:231], v[144:147]// 0000000041FC: D3F30090 0E43CD2E
	v_mfma_f32_16x16x32_fp8_fp8 v[148:151], a[32:33], v[232:233], v[148:151]// 000000004204: D3F30094 0E53D120
	v_mfma_f32_16x16x32_fp8_fp8 v[148:151], a[34:35], v[234:235], v[148:151]// 00000000420C: D3F30094 0E53D522
	buffer_load_dwordx4 a[152:155], v36, s[92:95], 0 offen offset:2048// 000000004214: E05C1800 80979824
	v_mfma_f32_16x16x32_fp8_fp8 v[148:151], a[36:37], v[236:237], v[148:151]// 00000000421C: D3F30094 0E53D924
	v_mfma_f32_16x16x32_fp8_fp8 v[148:151], a[38:39], v[238:239], v[148:151]// 000000004224: D3F30094 0E53DD26
	v_mfma_f32_16x16x32_fp8_fp8 v[148:151], a[40:41], v[240:241], v[148:151]// 00000000422C: D3F30094 0E53E128
	v_mfma_f32_16x16x32_fp8_fp8 v[148:151], a[42:43], v[242:243], v[148:151]// 000000004234: D3F30094 0E53E52A
	buffer_load_dwordx4 a[156:159], v36, s[92:95], 0 offen offset:3072// 00000000423C: E05C1C00 80979C24
	v_mfma_f32_16x16x32_fp8_fp8 v[148:151], a[44:45], v[244:245], v[148:151]// 000000004244: D3F30094 0E53E92C
	v_mfma_f32_16x16x32_fp8_fp8 v[148:151], a[46:47], v[246:247], v[148:151]// 00000000424C: D3F30094 0E53ED2E
	s_waitcnt vmcnt(32)                                        // 000000004254: BF8C8F70
	v_mfma_f32_16x16x32_fp8_fp8 v[152:155], a[48:49], v[216:217], v[152:155]// 000000004258: D3F30098 0E63B130
	v_mfma_f32_16x16x32_fp8_fp8 v[152:155], a[50:51], v[218:219], v[152:155]// 000000004260: D3F30098 0E63B532
	buffer_load_dwordx4 a[160:163], v37, s[92:95], 0 offen     // 000000004268: E05C1000 8097A025
	v_mfma_f32_16x16x32_fp8_fp8 v[152:155], a[52:53], v[220:221], v[152:155]// 000000004270: D3F30098 0E63B934
	v_mfma_f32_16x16x32_fp8_fp8 v[152:155], a[54:55], v[222:223], v[152:155]// 000000004278: D3F30098 0E63BD36
	v_mfma_f32_16x16x32_fp8_fp8 v[152:155], a[56:57], v[224:225], v[152:155]// 000000004280: D3F30098 0E63C138
	v_mfma_f32_16x16x32_fp8_fp8 v[152:155], a[58:59], v[226:227], v[152:155]// 000000004288: D3F30098 0E63C53A
	buffer_load_dwordx4 a[164:167], v37, s[92:95], 0 offen offset:1024// 000000004290: E05C1400 8097A425
	v_mfma_f32_16x16x32_fp8_fp8 v[152:155], a[60:61], v[228:229], v[152:155]// 000000004298: D3F30098 0E63C93C
	v_mfma_f32_16x16x32_fp8_fp8 v[152:155], a[62:63], v[230:231], v[152:155]// 0000000042A0: D3F30098 0E63CD3E
	v_mfma_f32_16x16x32_fp8_fp8 v[156:159], a[48:49], v[232:233], v[156:159]// 0000000042A8: D3F3009C 0E73D130
	v_mfma_f32_16x16x32_fp8_fp8 v[156:159], a[50:51], v[234:235], v[156:159]// 0000000042B0: D3F3009C 0E73D532
	buffer_load_dwordx4 a[168:171], v37, s[92:95], 0 offen offset:2048// 0000000042B8: E05C1800 8097A825
	v_mfma_f32_16x16x32_fp8_fp8 v[156:159], a[52:53], v[236:237], v[156:159]// 0000000042C0: D3F3009C 0E73D934
	v_mfma_f32_16x16x32_fp8_fp8 v[156:159], a[54:55], v[238:239], v[156:159]// 0000000042C8: D3F3009C 0E73DD36
	v_mfma_f32_16x16x32_fp8_fp8 v[156:159], a[56:57], v[240:241], v[156:159]// 0000000042D0: D3F3009C 0E73E138
	v_mfma_f32_16x16x32_fp8_fp8 v[156:159], a[58:59], v[242:243], v[156:159]// 0000000042D8: D3F3009C 0E73E53A
	buffer_load_dwordx4 a[172:175], v37, s[92:95], 0 offen offset:3072// 0000000042E0: E05C1C00 8097AC25
	v_mfma_f32_16x16x32_fp8_fp8 v[156:159], a[60:61], v[244:245], v[156:159]// 0000000042E8: D3F3009C 0E73E93C
	v_mfma_f32_16x16x32_fp8_fp8 v[156:159], a[62:63], v[246:247], v[156:159]// 0000000042F0: D3F3009C 0E73ED3E
	s_waitcnt vmcnt(32)                                        // 0000000042F8: BF8C8F70
	v_mfma_f32_16x16x32_fp8_fp8 v[160:163], a[64:65], v[216:217], v[160:163]// 0000000042FC: D3F300A0 0E83B140
	v_mfma_f32_16x16x32_fp8_fp8 v[160:163], a[66:67], v[218:219], v[160:163]// 000000004304: D3F300A0 0E83B542
	buffer_load_dwordx4 a[176:179], v38, s[92:95], 0 offen     // 00000000430C: E05C1000 8097B026
	v_mfma_f32_16x16x32_fp8_fp8 v[160:163], a[68:69], v[220:221], v[160:163]// 000000004314: D3F300A0 0E83B944
	v_mfma_f32_16x16x32_fp8_fp8 v[160:163], a[70:71], v[222:223], v[160:163]// 00000000431C: D3F300A0 0E83BD46
	v_mfma_f32_16x16x32_fp8_fp8 v[160:163], a[72:73], v[224:225], v[160:163]// 000000004324: D3F300A0 0E83C148
	v_mfma_f32_16x16x32_fp8_fp8 v[160:163], a[74:75], v[226:227], v[160:163]// 00000000432C: D3F300A0 0E83C54A
	buffer_load_dwordx4 a[180:183], v38, s[92:95], 0 offen offset:1024// 000000004334: E05C1400 8097B426
	v_mfma_f32_16x16x32_fp8_fp8 v[160:163], a[76:77], v[228:229], v[160:163]// 00000000433C: D3F300A0 0E83C94C
	v_mfma_f32_16x16x32_fp8_fp8 v[160:163], a[78:79], v[230:231], v[160:163]// 000000004344: D3F300A0 0E83CD4E
	v_mfma_f32_16x16x32_fp8_fp8 v[164:167], a[64:65], v[232:233], v[164:167]// 00000000434C: D3F300A4 0E93D140
	v_mfma_f32_16x16x32_fp8_fp8 v[164:167], a[66:67], v[234:235], v[164:167]// 000000004354: D3F300A4 0E93D542
	buffer_load_dwordx4 a[184:187], v38, s[92:95], 0 offen offset:2048// 00000000435C: E05C1800 8097B826
	v_mfma_f32_16x16x32_fp8_fp8 v[164:167], a[68:69], v[236:237], v[164:167]// 000000004364: D3F300A4 0E93D944
	v_mfma_f32_16x16x32_fp8_fp8 v[164:167], a[70:71], v[238:239], v[164:167]// 00000000436C: D3F300A4 0E93DD46
	v_mfma_f32_16x16x32_fp8_fp8 v[164:167], a[72:73], v[240:241], v[164:167]// 000000004374: D3F300A4 0E93E148
	v_mfma_f32_16x16x32_fp8_fp8 v[164:167], a[74:75], v[242:243], v[164:167]// 00000000437C: D3F300A4 0E93E54A
	buffer_load_dwordx4 a[188:191], v38, s[92:95], 0 offen offset:3072// 000000004384: E05C1C00 8097BC26
	v_mfma_f32_16x16x32_fp8_fp8 v[164:167], a[76:77], v[244:245], v[164:167]// 00000000438C: D3F300A4 0E93E94C
	v_mfma_f32_16x16x32_fp8_fp8 v[164:167], a[78:79], v[246:247], v[164:167]// 000000004394: D3F300A4 0E93ED4E
	s_waitcnt vmcnt(32)                                        // 00000000439C: BF8C8F70
	v_mfma_f32_16x16x32_fp8_fp8 v[168:171], a[80:81], v[216:217], v[168:171]// 0000000043A0: D3F300A8 0EA3B150
	v_mfma_f32_16x16x32_fp8_fp8 v[168:171], a[82:83], v[218:219], v[168:171]// 0000000043A8: D3F300A8 0EA3B552
	buffer_load_dwordx4 a[192:195], v39, s[92:95], 0 offen     // 0000000043B0: E05C1000 8097C027
	v_mfma_f32_16x16x32_fp8_fp8 v[168:171], a[84:85], v[220:221], v[168:171]// 0000000043B8: D3F300A8 0EA3B954
	v_mfma_f32_16x16x32_fp8_fp8 v[168:171], a[86:87], v[222:223], v[168:171]// 0000000043C0: D3F300A8 0EA3BD56
	v_mfma_f32_16x16x32_fp8_fp8 v[168:171], a[88:89], v[224:225], v[168:171]// 0000000043C8: D3F300A8 0EA3C158
	v_mfma_f32_16x16x32_fp8_fp8 v[168:171], a[90:91], v[226:227], v[168:171]// 0000000043D0: D3F300A8 0EA3C55A
	buffer_load_dwordx4 a[196:199], v39, s[92:95], 0 offen offset:1024// 0000000043D8: E05C1400 8097C427
	v_mfma_f32_16x16x32_fp8_fp8 v[168:171], a[92:93], v[228:229], v[168:171]// 0000000043E0: D3F300A8 0EA3C95C
	v_mfma_f32_16x16x32_fp8_fp8 v[168:171], a[94:95], v[230:231], v[168:171]// 0000000043E8: D3F300A8 0EA3CD5E
	v_mfma_f32_16x16x32_fp8_fp8 v[172:175], a[80:81], v[232:233], v[172:175]// 0000000043F0: D3F300AC 0EB3D150
	v_mfma_f32_16x16x32_fp8_fp8 v[172:175], a[82:83], v[234:235], v[172:175]// 0000000043F8: D3F300AC 0EB3D552
	buffer_load_dwordx4 a[200:203], v39, s[92:95], 0 offen offset:2048// 000000004400: E05C1800 8097C827
	v_mfma_f32_16x16x32_fp8_fp8 v[172:175], a[84:85], v[236:237], v[172:175]// 000000004408: D3F300AC 0EB3D954
	v_mfma_f32_16x16x32_fp8_fp8 v[172:175], a[86:87], v[238:239], v[172:175]// 000000004410: D3F300AC 0EB3DD56
	v_mfma_f32_16x16x32_fp8_fp8 v[172:175], a[88:89], v[240:241], v[172:175]// 000000004418: D3F300AC 0EB3E158
	v_mfma_f32_16x16x32_fp8_fp8 v[172:175], a[90:91], v[242:243], v[172:175]// 000000004420: D3F300AC 0EB3E55A
	buffer_load_dwordx4 a[204:207], v39, s[92:95], 0 offen offset:3072// 000000004428: E05C1C00 8097CC27
	v_mfma_f32_16x16x32_fp8_fp8 v[172:175], a[92:93], v[244:245], v[172:175]// 000000004430: D3F300AC 0EB3E95C
	v_mfma_f32_16x16x32_fp8_fp8 v[172:175], a[94:95], v[246:247], v[172:175]// 000000004438: D3F300AC 0EB3ED5E
	s_waitcnt vmcnt(32)                                        // 000000004440: BF8C8F70
	v_mfma_f32_16x16x32_fp8_fp8 v[176:179], a[96:97], v[216:217], v[176:179]// 000000004444: D3F300B0 0EC3B160
	v_mfma_f32_16x16x32_fp8_fp8 v[176:179], a[98:99], v[218:219], v[176:179]// 00000000444C: D3F300B0 0EC3B562
	buffer_load_dwordx4 a[208:211], v40, s[92:95], 0 offen     // 000000004454: E05C1000 8097D028
	v_mfma_f32_16x16x32_fp8_fp8 v[176:179], a[100:101], v[220:221], v[176:179]// 00000000445C: D3F300B0 0EC3B964
	v_mfma_f32_16x16x32_fp8_fp8 v[176:179], a[102:103], v[222:223], v[176:179]// 000000004464: D3F300B0 0EC3BD66
	v_mfma_f32_16x16x32_fp8_fp8 v[176:179], a[104:105], v[224:225], v[176:179]// 00000000446C: D3F300B0 0EC3C168
	v_mfma_f32_16x16x32_fp8_fp8 v[176:179], a[106:107], v[226:227], v[176:179]// 000000004474: D3F300B0 0EC3C56A
	buffer_load_dwordx4 a[212:215], v40, s[92:95], 0 offen offset:1024// 00000000447C: E05C1400 8097D428
	v_mfma_f32_16x16x32_fp8_fp8 v[176:179], a[108:109], v[228:229], v[176:179]// 000000004484: D3F300B0 0EC3C96C
	v_mfma_f32_16x16x32_fp8_fp8 v[176:179], a[110:111], v[230:231], v[176:179]// 00000000448C: D3F300B0 0EC3CD6E
	v_mfma_f32_16x16x32_fp8_fp8 v[180:183], a[96:97], v[232:233], v[180:183]// 000000004494: D3F300B4 0ED3D160
	v_mfma_f32_16x16x32_fp8_fp8 v[180:183], a[98:99], v[234:235], v[180:183]// 00000000449C: D3F300B4 0ED3D562
	buffer_load_dwordx4 a[216:219], v40, s[92:95], 0 offen offset:2048// 0000000044A4: E05C1800 8097D828
	v_mfma_f32_16x16x32_fp8_fp8 v[180:183], a[100:101], v[236:237], v[180:183]// 0000000044AC: D3F300B4 0ED3D964
	v_mfma_f32_16x16x32_fp8_fp8 v[180:183], a[102:103], v[238:239], v[180:183]// 0000000044B4: D3F300B4 0ED3DD66
	v_mfma_f32_16x16x32_fp8_fp8 v[180:183], a[104:105], v[240:241], v[180:183]// 0000000044BC: D3F300B4 0ED3E168
	v_mfma_f32_16x16x32_fp8_fp8 v[180:183], a[106:107], v[242:243], v[180:183]// 0000000044C4: D3F300B4 0ED3E56A
	buffer_load_dwordx4 a[220:223], v40, s[92:95], 0 offen offset:3072// 0000000044CC: E05C1C00 8097DC28
	v_mfma_f32_16x16x32_fp8_fp8 v[180:183], a[108:109], v[244:245], v[180:183]// 0000000044D4: D3F300B4 0ED3E96C
	v_mfma_f32_16x16x32_fp8_fp8 v[180:183], a[110:111], v[246:247], v[180:183]// 0000000044DC: D3F300B4 0ED3ED6E
	s_waitcnt vmcnt(20)                                        // 0000000044E4: BF8C4F74
	s_barrier                                                  // 0000000044E8: BF8A0000
	v_mfma_f32_16x16x32_fp8_fp8 v[64:67], a[112:113], v[216:217], v[64:67]// 0000000044EC: D3F30040 0D03B170
	v_mfma_f32_16x16x32_fp8_fp8 v[64:67], a[114:115], v[218:219], v[64:67]// 0000000044F4: D3F30040 0D03B572
	buffer_load_dwordx4 a[0:3], v34, s[24:27], 0 offen         // 0000000044FC: E05C1000 80860022
	v_mfma_f32_16x16x32_fp8_fp8 v[64:67], a[116:117], v[220:221], v[64:67]// 000000004504: D3F30040 0D03B974
	v_mfma_f32_16x16x32_fp8_fp8 v[64:67], a[118:119], v[222:223], v[64:67]// 00000000450C: D3F30040 0D03BD76
	v_mfma_f32_16x16x32_fp8_fp8 v[64:67], a[120:121], v[224:225], v[64:67]// 000000004514: D3F30040 0D03C178
	v_mfma_f32_16x16x32_fp8_fp8 v[64:67], a[122:123], v[226:227], v[64:67]// 00000000451C: D3F30040 0D03C57A
	buffer_load_dwordx4 a[4:7], v34, s[24:27], 0 offen offset:1024// 000000004524: E05C1400 80860422
	v_mfma_f32_16x16x32_fp8_fp8 v[64:67], a[124:125], v[228:229], v[64:67]// 00000000452C: D3F30040 0D03C97C
	v_mfma_f32_16x16x32_fp8_fp8 v[64:67], a[126:127], v[230:231], v[64:67]// 000000004534: D3F30040 0D03CD7E
	v_mfma_f32_16x16x32_fp8_fp8 v[68:71], a[112:113], v[232:233], v[68:71]// 00000000453C: D3F30044 0D13D170
	v_mfma_f32_16x16x32_fp8_fp8 v[68:71], a[114:115], v[234:235], v[68:71]// 000000004544: D3F30044 0D13D572
	buffer_load_dwordx4 a[8:11], v34, s[24:27], 0 offen offset:2048// 00000000454C: E05C1800 80860822
	v_mfma_f32_16x16x32_fp8_fp8 v[68:71], a[116:117], v[236:237], v[68:71]// 000000004554: D3F30044 0D13D974
	v_mfma_f32_16x16x32_fp8_fp8 v[68:71], a[118:119], v[238:239], v[68:71]// 00000000455C: D3F30044 0D13DD76
	v_mfma_f32_16x16x32_fp8_fp8 v[68:71], a[120:121], v[240:241], v[68:71]// 000000004564: D3F30044 0D13E178
	v_mfma_f32_16x16x32_fp8_fp8 v[68:71], a[122:123], v[242:243], v[68:71]// 00000000456C: D3F30044 0D13E57A
	buffer_load_dwordx4 a[12:15], v34, s[24:27], 0 offen offset:3072// 000000004574: E05C1C00 80860C22
	v_mfma_f32_16x16x32_fp8_fp8 v[68:71], a[124:125], v[244:245], v[68:71]// 00000000457C: D3F30044 0D13E97C
	v_mfma_f32_16x16x32_fp8_fp8 v[68:71], a[126:127], v[246:247], v[68:71]// 000000004584: D3F30044 0D13ED7E
	v_mfma_f32_16x16x32_fp8_fp8 v[72:75], a[128:129], v[216:217], v[72:75]// 00000000458C: D3F30048 0D23B180
	v_mfma_f32_16x16x32_fp8_fp8 v[72:75], a[130:131], v[218:219], v[72:75]// 000000004594: D3F30048 0D23B582
	buffer_load_dwordx4 a[16:19], v35, s[24:27], 0 offen       // 00000000459C: E05C1000 80861023
	v_mfma_f32_16x16x32_fp8_fp8 v[72:75], a[132:133], v[220:221], v[72:75]// 0000000045A4: D3F30048 0D23B984
	v_mfma_f32_16x16x32_fp8_fp8 v[72:75], a[134:135], v[222:223], v[72:75]// 0000000045AC: D3F30048 0D23BD86
	v_mfma_f32_16x16x32_fp8_fp8 v[72:75], a[136:137], v[224:225], v[72:75]// 0000000045B4: D3F30048 0D23C188
	v_mfma_f32_16x16x32_fp8_fp8 v[72:75], a[138:139], v[226:227], v[72:75]// 0000000045BC: D3F30048 0D23C58A
	buffer_load_dwordx4 a[20:23], v35, s[24:27], 0 offen offset:1024// 0000000045C4: E05C1400 80861423
	v_mfma_f32_16x16x32_fp8_fp8 v[72:75], a[140:141], v[228:229], v[72:75]// 0000000045CC: D3F30048 0D23C98C
	v_mfma_f32_16x16x32_fp8_fp8 v[72:75], a[142:143], v[230:231], v[72:75]// 0000000045D4: D3F30048 0D23CD8E
	v_mfma_f32_16x16x32_fp8_fp8 v[76:79], a[128:129], v[232:233], v[76:79]// 0000000045DC: D3F3004C 0D33D180
	v_mfma_f32_16x16x32_fp8_fp8 v[76:79], a[130:131], v[234:235], v[76:79]// 0000000045E4: D3F3004C 0D33D582
	buffer_load_dwordx4 a[24:27], v35, s[24:27], 0 offen offset:2048// 0000000045EC: E05C1800 80861823
	v_mfma_f32_16x16x32_fp8_fp8 v[76:79], a[132:133], v[236:237], v[76:79]// 0000000045F4: D3F3004C 0D33D984
	v_mfma_f32_16x16x32_fp8_fp8 v[76:79], a[134:135], v[238:239], v[76:79]// 0000000045FC: D3F3004C 0D33DD86
	v_mfma_f32_16x16x32_fp8_fp8 v[76:79], a[136:137], v[240:241], v[76:79]// 000000004604: D3F3004C 0D33E188
	v_mfma_f32_16x16x32_fp8_fp8 v[76:79], a[138:139], v[242:243], v[76:79]// 00000000460C: D3F3004C 0D33E58A
	buffer_load_dwordx4 a[28:31], v35, s[24:27], 0 offen offset:3072// 000000004614: E05C1C00 80861C23
	v_mfma_f32_16x16x32_fp8_fp8 v[76:79], a[140:141], v[244:245], v[76:79]// 00000000461C: D3F3004C 0D33E98C
	v_mfma_f32_16x16x32_fp8_fp8 v[76:79], a[142:143], v[246:247], v[76:79]// 000000004624: D3F3004C 0D33ED8E
	s_waitcnt vmcnt(24)                                        // 00000000462C: BF8C4F78
	v_mfma_f32_16x16x32_fp8_fp8 v[80:83], a[144:145], v[216:217], v[80:83]// 000000004630: D3F30050 0D43B190
	v_mfma_f32_16x16x32_fp8_fp8 v[80:83], a[146:147], v[218:219], v[80:83]// 000000004638: D3F30050 0D43B592
	buffer_load_dwordx4 a[32:35], v36, s[24:27], 0 offen       // 000000004640: E05C1000 80862024
	v_mfma_f32_16x16x32_fp8_fp8 v[80:83], a[148:149], v[220:221], v[80:83]// 000000004648: D3F30050 0D43B994
	v_mfma_f32_16x16x32_fp8_fp8 v[80:83], a[150:151], v[222:223], v[80:83]// 000000004650: D3F30050 0D43BD96
	ds_read_b128 v[184:187], v2                                // 000000004658: D9FE0000 B8000002
	v_mfma_f32_16x16x32_fp8_fp8 v[80:83], a[152:153], v[224:225], v[80:83]// 000000004660: D3F30050 0D43C198
	v_mfma_f32_16x16x32_fp8_fp8 v[80:83], a[154:155], v[226:227], v[80:83]// 000000004668: D3F30050 0D43C59A
	buffer_load_dwordx4 a[36:39], v36, s[24:27], 0 offen offset:1024// 000000004670: E05C1400 80862424
	v_mfma_f32_16x16x32_fp8_fp8 v[80:83], a[156:157], v[228:229], v[80:83]// 000000004678: D3F30050 0D43C99C
	v_mfma_f32_16x16x32_fp8_fp8 v[80:83], a[158:159], v[230:231], v[80:83]// 000000004680: D3F30050 0D43CD9E
	ds_read_b128 v[188:191], v2 offset:64                      // 000000004688: D9FE0040 BC000002
	v_mfma_f32_16x16x32_fp8_fp8 v[84:87], a[144:145], v[232:233], v[84:87]// 000000004690: D3F30054 0D53D190
	v_mfma_f32_16x16x32_fp8_fp8 v[84:87], a[146:147], v[234:235], v[84:87]// 000000004698: D3F30054 0D53D592
	buffer_load_dwordx4 a[40:43], v36, s[24:27], 0 offen offset:2048// 0000000046A0: E05C1800 80862824
	v_mfma_f32_16x16x32_fp8_fp8 v[84:87], a[148:149], v[236:237], v[84:87]// 0000000046A8: D3F30054 0D53D994
	v_mfma_f32_16x16x32_fp8_fp8 v[84:87], a[150:151], v[238:239], v[84:87]// 0000000046B0: D3F30054 0D53DD96
	ds_read_b128 v[192:195], v2 offset:128                     // 0000000046B8: D9FE0080 C0000002
	v_mfma_f32_16x16x32_fp8_fp8 v[84:87], a[152:153], v[240:241], v[84:87]// 0000000046C0: D3F30054 0D53E198
	v_mfma_f32_16x16x32_fp8_fp8 v[84:87], a[154:155], v[242:243], v[84:87]// 0000000046C8: D3F30054 0D53E59A
	buffer_load_dwordx4 a[44:47], v36, s[24:27], 0 offen offset:3072// 0000000046D0: E05C1C00 80862C24
	v_mfma_f32_16x16x32_fp8_fp8 v[84:87], a[156:157], v[244:245], v[84:87]// 0000000046D8: D3F30054 0D53E99C
	v_mfma_f32_16x16x32_fp8_fp8 v[84:87], a[158:159], v[246:247], v[84:87]// 0000000046E0: D3F30054 0D53ED9E
	ds_read_b128 v[196:199], v2 offset:192                     // 0000000046E8: D9FE00C0 C4000002
	s_waitcnt vmcnt(24)                                        // 0000000046F0: BF8C4F78
	v_mfma_f32_16x16x32_fp8_fp8 v[88:91], a[160:161], v[216:217], v[88:91]// 0000000046F4: D3F30058 0D63B1A0
	v_mfma_f32_16x16x32_fp8_fp8 v[88:91], a[162:163], v[218:219], v[88:91]// 0000000046FC: D3F30058 0D63B5A2
	buffer_load_dwordx4 a[48:51], v37, s[24:27], 0 offen       // 000000004704: E05C1000 80863025
	v_mfma_f32_16x16x32_fp8_fp8 v[88:91], a[164:165], v[220:221], v[88:91]// 00000000470C: D3F30058 0D63B9A4
	v_mfma_f32_16x16x32_fp8_fp8 v[88:91], a[166:167], v[222:223], v[88:91]// 000000004714: D3F30058 0D63BDA6
	ds_read_b128 v[200:203], v2 offset:1024                    // 00000000471C: D9FE0400 C8000002
	v_mfma_f32_16x16x32_fp8_fp8 v[88:91], a[168:169], v[224:225], v[88:91]// 000000004724: D3F30058 0D63C1A8
	v_mfma_f32_16x16x32_fp8_fp8 v[88:91], a[170:171], v[226:227], v[88:91]// 00000000472C: D3F30058 0D63C5AA
	buffer_load_dwordx4 a[52:55], v37, s[24:27], 0 offen offset:1024// 000000004734: E05C1400 80863425
	v_mfma_f32_16x16x32_fp8_fp8 v[88:91], a[172:173], v[228:229], v[88:91]// 00000000473C: D3F30058 0D63C9AC
	v_mfma_f32_16x16x32_fp8_fp8 v[88:91], a[174:175], v[230:231], v[88:91]// 000000004744: D3F30058 0D63CDAE
	ds_read_b128 v[204:207], v2 offset:1088                    // 00000000474C: D9FE0440 CC000002
	v_mfma_f32_16x16x32_fp8_fp8 v[92:95], a[160:161], v[232:233], v[92:95]// 000000004754: D3F3005C 0D73D1A0
	v_mfma_f32_16x16x32_fp8_fp8 v[92:95], a[162:163], v[234:235], v[92:95]// 00000000475C: D3F3005C 0D73D5A2
	buffer_load_dwordx4 a[56:59], v37, s[24:27], 0 offen offset:2048// 000000004764: E05C1800 80863825
	v_mfma_f32_16x16x32_fp8_fp8 v[92:95], a[164:165], v[236:237], v[92:95]// 00000000476C: D3F3005C 0D73D9A4
	v_mfma_f32_16x16x32_fp8_fp8 v[92:95], a[166:167], v[238:239], v[92:95]// 000000004774: D3F3005C 0D73DDA6
	ds_read_b128 v[208:211], v2 offset:1152                    // 00000000477C: D9FE0480 D0000002
	v_mfma_f32_16x16x32_fp8_fp8 v[92:95], a[168:169], v[240:241], v[92:95]// 000000004784: D3F3005C 0D73E1A8
	v_mfma_f32_16x16x32_fp8_fp8 v[92:95], a[170:171], v[242:243], v[92:95]// 00000000478C: D3F3005C 0D73E5AA
	buffer_load_dwordx4 a[60:63], v37, s[24:27], 0 offen offset:3072// 000000004794: E05C1C00 80863C25
	v_mfma_f32_16x16x32_fp8_fp8 v[92:95], a[172:173], v[244:245], v[92:95]// 00000000479C: D3F3005C 0D73E9AC
	v_mfma_f32_16x16x32_fp8_fp8 v[92:95], a[174:175], v[246:247], v[92:95]// 0000000047A4: D3F3005C 0D73EDAE
	ds_read_b128 v[212:215], v2 offset:1216                    // 0000000047AC: D9FE04C0 D4000002
	s_waitcnt vmcnt(24)                                        // 0000000047B4: BF8C4F78
	v_mfma_f32_16x16x32_fp8_fp8 v[96:99], a[176:177], v[216:217], v[96:99]// 0000000047B8: D3F30060 0D83B1B0
	v_mfma_f32_16x16x32_fp8_fp8 v[96:99], a[178:179], v[218:219], v[96:99]// 0000000047C0: D3F30060 0D83B5B2
	buffer_load_dwordx4 a[64:67], v38, s[24:27], 0 offen       // 0000000047C8: E05C1000 80864026
	v_mfma_f32_16x16x32_fp8_fp8 v[96:99], a[180:181], v[220:221], v[96:99]// 0000000047D0: D3F30060 0D83B9B4
	v_mfma_f32_16x16x32_fp8_fp8 v[96:99], a[182:183], v[222:223], v[96:99]// 0000000047D8: D3F30060 0D83BDB6
	v_mfma_f32_16x16x32_fp8_fp8 v[96:99], a[184:185], v[224:225], v[96:99]// 0000000047E0: D3F30060 0D83C1B8
	v_mfma_f32_16x16x32_fp8_fp8 v[96:99], a[186:187], v[226:227], v[96:99]// 0000000047E8: D3F30060 0D83C5BA
	buffer_load_dwordx4 a[68:71], v38, s[24:27], 0 offen offset:1024// 0000000047F0: E05C1400 80864426
	v_mfma_f32_16x16x32_fp8_fp8 v[96:99], a[188:189], v[228:229], v[96:99]// 0000000047F8: D3F30060 0D83C9BC
	v_mfma_f32_16x16x32_fp8_fp8 v[96:99], a[190:191], v[230:231], v[96:99]// 000000004800: D3F30060 0D83CDBE
	v_mfma_f32_16x16x32_fp8_fp8 v[100:103], a[176:177], v[232:233], v[100:103]// 000000004808: D3F30064 0D93D1B0
	v_mfma_f32_16x16x32_fp8_fp8 v[100:103], a[178:179], v[234:235], v[100:103]// 000000004810: D3F30064 0D93D5B2
	buffer_load_dwordx4 a[72:75], v38, s[24:27], 0 offen offset:2048// 000000004818: E05C1800 80864826
	v_mfma_f32_16x16x32_fp8_fp8 v[100:103], a[180:181], v[236:237], v[100:103]// 000000004820: D3F30064 0D93D9B4
	v_mfma_f32_16x16x32_fp8_fp8 v[100:103], a[182:183], v[238:239], v[100:103]// 000000004828: D3F30064 0D93DDB6
	v_mfma_f32_16x16x32_fp8_fp8 v[100:103], a[184:185], v[240:241], v[100:103]// 000000004830: D3F30064 0D93E1B8
	v_mfma_f32_16x16x32_fp8_fp8 v[100:103], a[186:187], v[242:243], v[100:103]// 000000004838: D3F30064 0D93E5BA
	buffer_load_dwordx4 a[76:79], v38, s[24:27], 0 offen offset:3072// 000000004840: E05C1C00 80864C26
	v_mfma_f32_16x16x32_fp8_fp8 v[100:103], a[188:189], v[244:245], v[100:103]// 000000004848: D3F30064 0D93E9BC
	v_mfma_f32_16x16x32_fp8_fp8 v[100:103], a[190:191], v[246:247], v[100:103]// 000000004850: D3F30064 0D93EDBE
	s_waitcnt vmcnt(24)                                        // 000000004858: BF8C4F78
	v_mfma_f32_16x16x32_fp8_fp8 v[104:107], a[192:193], v[216:217], v[104:107]// 00000000485C: D3F30068 0DA3B1C0
	v_mfma_f32_16x16x32_fp8_fp8 v[104:107], a[194:195], v[218:219], v[104:107]// 000000004864: D3F30068 0DA3B5C2
	buffer_load_dwordx4 a[80:83], v39, s[24:27], 0 offen       // 00000000486C: E05C1000 80865027
	v_mfma_f32_16x16x32_fp8_fp8 v[104:107], a[196:197], v[220:221], v[104:107]// 000000004874: D3F30068 0DA3B9C4
	v_mfma_f32_16x16x32_fp8_fp8 v[104:107], a[198:199], v[222:223], v[104:107]// 00000000487C: D3F30068 0DA3BDC6
	v_mfma_f32_16x16x32_fp8_fp8 v[104:107], a[200:201], v[224:225], v[104:107]// 000000004884: D3F30068 0DA3C1C8
	v_mfma_f32_16x16x32_fp8_fp8 v[104:107], a[202:203], v[226:227], v[104:107]// 00000000488C: D3F30068 0DA3C5CA
	buffer_load_dwordx4 a[84:87], v39, s[24:27], 0 offen offset:1024// 000000004894: E05C1400 80865427
	v_mfma_f32_16x16x32_fp8_fp8 v[104:107], a[204:205], v[228:229], v[104:107]// 00000000489C: D3F30068 0DA3C9CC
	v_mfma_f32_16x16x32_fp8_fp8 v[104:107], a[206:207], v[230:231], v[104:107]// 0000000048A4: D3F30068 0DA3CDCE
	v_mfma_f32_16x16x32_fp8_fp8 v[108:111], a[192:193], v[232:233], v[108:111]// 0000000048AC: D3F3006C 0DB3D1C0
	v_mfma_f32_16x16x32_fp8_fp8 v[108:111], a[194:195], v[234:235], v[108:111]// 0000000048B4: D3F3006C 0DB3D5C2
	buffer_load_dwordx4 a[88:91], v39, s[24:27], 0 offen offset:2048// 0000000048BC: E05C1800 80865827
	v_mfma_f32_16x16x32_fp8_fp8 v[108:111], a[196:197], v[236:237], v[108:111]// 0000000048C4: D3F3006C 0DB3D9C4
	v_mfma_f32_16x16x32_fp8_fp8 v[108:111], a[198:199], v[238:239], v[108:111]// 0000000048CC: D3F3006C 0DB3DDC6
	v_mfma_f32_16x16x32_fp8_fp8 v[108:111], a[200:201], v[240:241], v[108:111]// 0000000048D4: D3F3006C 0DB3E1C8
	v_mfma_f32_16x16x32_fp8_fp8 v[108:111], a[202:203], v[242:243], v[108:111]// 0000000048DC: D3F3006C 0DB3E5CA
	buffer_load_dwordx4 a[92:95], v39, s[24:27], 0 offen offset:3072// 0000000048E4: E05C1C00 80865C27
	v_mfma_f32_16x16x32_fp8_fp8 v[108:111], a[204:205], v[244:245], v[108:111]// 0000000048EC: D3F3006C 0DB3E9CC
	v_mfma_f32_16x16x32_fp8_fp8 v[108:111], a[206:207], v[246:247], v[108:111]// 0000000048F4: D3F3006C 0DB3EDCE
	s_waitcnt vmcnt(24)                                        // 0000000048FC: BF8C4F78
	v_mfma_f32_16x16x32_fp8_fp8 v[112:115], a[208:209], v[216:217], v[112:115]// 000000004900: D3F30070 0DC3B1D0
	v_mfma_f32_16x16x32_fp8_fp8 v[112:115], a[210:211], v[218:219], v[112:115]// 000000004908: D3F30070 0DC3B5D2
	buffer_load_dwordx4 a[96:99], v40, s[24:27], 0 offen       // 000000004910: E05C1000 80866028
	v_mfma_f32_16x16x32_fp8_fp8 v[112:115], a[212:213], v[220:221], v[112:115]// 000000004918: D3F30070 0DC3B9D4
	v_mfma_f32_16x16x32_fp8_fp8 v[112:115], a[214:215], v[222:223], v[112:115]// 000000004920: D3F30070 0DC3BDD6
	v_mfma_f32_16x16x32_fp8_fp8 v[112:115], a[216:217], v[224:225], v[112:115]// 000000004928: D3F30070 0DC3C1D8
	v_mfma_f32_16x16x32_fp8_fp8 v[112:115], a[218:219], v[226:227], v[112:115]// 000000004930: D3F30070 0DC3C5DA
	buffer_load_dwordx4 a[100:103], v40, s[24:27], 0 offen offset:1024// 000000004938: E05C1400 80866428
	v_mfma_f32_16x16x32_fp8_fp8 v[112:115], a[220:221], v[228:229], v[112:115]// 000000004940: D3F30070 0DC3C9DC
	v_mfma_f32_16x16x32_fp8_fp8 v[112:115], a[222:223], v[230:231], v[112:115]// 000000004948: D3F30070 0DC3CDDE
	v_mfma_f32_16x16x32_fp8_fp8 v[116:119], a[208:209], v[232:233], v[116:119]// 000000004950: D3F30074 0DD3D1D0
	v_mfma_f32_16x16x32_fp8_fp8 v[116:119], a[210:211], v[234:235], v[116:119]// 000000004958: D3F30074 0DD3D5D2
	buffer_load_dwordx4 a[104:107], v40, s[24:27], 0 offen offset:2048// 000000004960: E05C1800 80866828
	v_mfma_f32_16x16x32_fp8_fp8 v[116:119], a[212:213], v[236:237], v[116:119]// 000000004968: D3F30074 0DD3D9D4
	v_mfma_f32_16x16x32_fp8_fp8 v[116:119], a[214:215], v[238:239], v[116:119]// 000000004970: D3F30074 0DD3DDD6
	v_mfma_f32_16x16x32_fp8_fp8 v[116:119], a[216:217], v[240:241], v[116:119]// 000000004978: D3F30074 0DD3E1D8
	v_mfma_f32_16x16x32_fp8_fp8 v[116:119], a[218:219], v[242:243], v[116:119]// 000000004980: D3F30074 0DD3E5DA
	buffer_load_dwordx4 a[108:111], v40, s[24:27], 0 offen offset:3072// 000000004988: E05C1C00 80866C28
	v_mfma_f32_16x16x32_fp8_fp8 v[116:119], a[220:221], v[244:245], v[116:119]// 000000004990: D3F30074 0DD3E9DC
	v_mfma_f32_16x16x32_fp8_fp8 v[116:119], a[222:223], v[246:247], v[116:119]// 000000004998: D3F30074 0DD3EDDE
	s_add_u32 s60, 0x200, s80                                  // 0000000049A0: 803C50FF 00000200
	s_cmp_lt_u32 s60, s81                                      // 0000000049A8: BF0A513C
	s_cselect_b32 s57, s57, 0                                  // 0000000049AC: 85398039
	s_add_u32 s60, 0x200, s80                                  // 0000000049B0: 803C50FF 00000200
	s_cmp_lt_u32 s60, s81                                      // 0000000049B8: BF0A513C
	s_cselect_b32 s58, s58, 0                                  // 0000000049BC: 853A803A
	s_add_u32 s20, s57, s20                                    // 0000000049C0: 80141439
	s_addc_u32 s21, 0, s21                                     // 0000000049C4: 82151580
	s_add_u32 s24, s58, s24                                    // 0000000049C8: 8018183A
	s_addc_u32 s25, 0, s25                                     // 0000000049CC: 82191980
	s_add_u32 s92, s90, s92                                    // 0000000049D0: 805C5C5A
	s_addc_u32 s93, 0, s93                                     // 0000000049D4: 825D5D80
	s_addk_i32 s80, 0x100                                      // 0000000049D8: B7500100
	s_cmp_lt_i32 s80, s81                                      // 0000000049DC: BF045150
	s_cbranch_scc0 label_07BA                                  // 0000000049E0: BF840001
	s_branch label_02BD                                        // 0000000049E4: BF82FB03

00000000000049e8 <label_07BA>:
	s_mov_b32 s36, -1                                          // 0000000049E8: BEA400C1
	s_mov_b32 s37, -1                                          // 0000000049EC: BEA500C1
	s_mov_b64 s[60:61], 0                                      // 0000000049F0: BEBC0180
	s_cmp_lt_u32 s82, s66                                      // 0000000049F4: BF0A4252
	s_cselect_b64 s[20:21], s[36:37], s[60:61]                 // 0000000049F8: 85943C24
	s_cmp_lt_u32 s83, s66                                      // 0000000049FC: BF0A4253
	s_cselect_b64 s[22:23], s[36:37], s[60:61]                 // 000000004A00: 85963C24
	s_cmp_lt_u32 s84, s66                                      // 000000004A04: BF0A4254
	s_cselect_b64 s[24:25], s[36:37], s[60:61]                 // 000000004A08: 85983C24
	s_cmp_lt_u32 s85, s66                                      // 000000004A0C: BF0A4255
	s_cselect_b64 s[26:27], s[36:37], s[60:61]                 // 000000004A10: 859A3C24
	s_cmp_lt_u32 s86, s66                                      // 000000004A14: BF0A4256
	s_cselect_b64 s[28:29], s[36:37], s[60:61]                 // 000000004A18: 859C3C24
	s_cmp_lt_u32 s87, s66                                      // 000000004A1C: BF0A4257
	s_cselect_b64 s[30:31], s[36:37], s[60:61]                 // 000000004A20: 859E3C24
	s_cmp_lt_u32 s88, s66                                      // 000000004A24: BF0A4258
	s_cselect_b64 s[32:33], s[36:37], s[60:61]                 // 000000004A28: 85A03C24
	s_cmp_lt_u32 s89, s66                                      // 000000004A2C: BF0A4259
	s_cselect_b64 s[34:35], s[36:37], s[60:61]                 // 000000004A30: 85A23C24
	v_mul_f32_e32 v128, v14, v128                              // 000000004A34: 0B01010E
	v_mul_f32_e32 v129, v14, v129                              // 000000004A38: 0B03030E
	v_mul_f32_e32 v130, v14, v130                              // 000000004A3C: 0B05050E
	v_mul_f32_e32 v131, v14, v131                              // 000000004A40: 0B07070E
	v_mul_f32_dpp v128, v16, v128 row_newbcast:0 row_mask:0xf bank_mask:0xf// 000000004A44: 0B0100FA FF015010
	v_mul_f32_dpp v129, v16, v129 row_newbcast:1 row_mask:0xf bank_mask:0xf// 000000004A4C: 0B0302FA FF015110
	v_mul_f32_dpp v130, v16, v130 row_newbcast:2 row_mask:0xf bank_mask:0xf// 000000004A54: 0B0504FA FF015210
	v_mul_f32_dpp v131, v16, v131 row_newbcast:3 row_mask:0xf bank_mask:0xf// 000000004A5C: 0B0706FA FF015310
	v_mul_f32_e32 v132, v15, v132                              // 000000004A64: 0B09090F
	v_mul_f32_e32 v133, v15, v133                              // 000000004A68: 0B0B0B0F
	v_mul_f32_e32 v134, v15, v134                              // 000000004A6C: 0B0D0D0F
	v_mul_f32_e32 v135, v15, v135                              // 000000004A70: 0B0F0F0F
	v_mul_f32_dpp v132, v16, v132 row_newbcast:0 row_mask:0xf bank_mask:0xf// 000000004A74: 0B0908FA FF015010
	v_mul_f32_dpp v133, v16, v133 row_newbcast:1 row_mask:0xf bank_mask:0xf// 000000004A7C: 0B0B0AFA FF015110
	v_mul_f32_dpp v134, v16, v134 row_newbcast:2 row_mask:0xf bank_mask:0xf// 000000004A84: 0B0D0CFA FF015210
	v_mul_f32_dpp v135, v16, v135 row_newbcast:3 row_mask:0xf bank_mask:0xf// 000000004A8C: 0B0F0EFA FF015310
	v_mul_f32_e32 v136, v14, v136                              // 000000004A94: 0B11110E
	v_mul_f32_e32 v137, v14, v137                              // 000000004A98: 0B13130E
	v_mul_f32_e32 v138, v14, v138                              // 000000004A9C: 0B15150E
	v_mul_f32_e32 v139, v14, v139                              // 000000004AA0: 0B17170E
	v_mul_f32_dpp v136, v16, v136 row_newbcast:4 row_mask:0xf bank_mask:0xf// 000000004AA4: 0B1110FA FF015410
	v_mul_f32_dpp v137, v16, v137 row_newbcast:5 row_mask:0xf bank_mask:0xf// 000000004AAC: 0B1312FA FF015510
	v_mul_f32_dpp v138, v16, v138 row_newbcast:6 row_mask:0xf bank_mask:0xf// 000000004AB4: 0B1514FA FF015610
	v_mul_f32_dpp v139, v16, v139 row_newbcast:7 row_mask:0xf bank_mask:0xf// 000000004ABC: 0B1716FA FF015710
	v_mul_f32_e32 v140, v15, v140                              // 000000004AC4: 0B19190F
	v_mul_f32_e32 v141, v15, v141                              // 000000004AC8: 0B1B1B0F
	v_mul_f32_e32 v142, v15, v142                              // 000000004ACC: 0B1D1D0F
	v_mul_f32_e32 v143, v15, v143                              // 000000004AD0: 0B1F1F0F
	v_mul_f32_dpp v140, v16, v140 row_newbcast:4 row_mask:0xf bank_mask:0xf// 000000004AD4: 0B1918FA FF015410
	v_mul_f32_dpp v141, v16, v141 row_newbcast:5 row_mask:0xf bank_mask:0xf// 000000004ADC: 0B1B1AFA FF015510
	v_mul_f32_dpp v142, v16, v142 row_newbcast:6 row_mask:0xf bank_mask:0xf// 000000004AE4: 0B1D1CFA FF015610
	v_mul_f32_dpp v143, v16, v143 row_newbcast:7 row_mask:0xf bank_mask:0xf// 000000004AEC: 0B1F1EFA FF015710
	v_mul_f32_e32 v144, v14, v144                              // 000000004AF4: 0B21210E
	v_mul_f32_e32 v145, v14, v145                              // 000000004AF8: 0B23230E
	v_mul_f32_e32 v146, v14, v146                              // 000000004AFC: 0B25250E
	v_mul_f32_e32 v147, v14, v147                              // 000000004B00: 0B27270E
	v_mul_f32_dpp v144, v16, v144 row_newbcast:8 row_mask:0xf bank_mask:0xf// 000000004B04: 0B2120FA FF015810
	v_mul_f32_dpp v145, v16, v145 row_newbcast:9 row_mask:0xf bank_mask:0xf// 000000004B0C: 0B2322FA FF015910
	v_mul_f32_dpp v146, v16, v146 row_newbcast:10 row_mask:0xf bank_mask:0xf// 000000004B14: 0B2524FA FF015A10
	v_mul_f32_dpp v147, v16, v147 row_newbcast:11 row_mask:0xf bank_mask:0xf// 000000004B1C: 0B2726FA FF015B10
	v_mul_f32_e32 v148, v15, v148                              // 000000004B24: 0B29290F
	v_mul_f32_e32 v149, v15, v149                              // 000000004B28: 0B2B2B0F
	v_mul_f32_e32 v150, v15, v150                              // 000000004B2C: 0B2D2D0F
	v_mul_f32_e32 v151, v15, v151                              // 000000004B30: 0B2F2F0F
	v_mul_f32_dpp v148, v16, v148 row_newbcast:8 row_mask:0xf bank_mask:0xf// 000000004B34: 0B2928FA FF015810
	v_mul_f32_dpp v149, v16, v149 row_newbcast:9 row_mask:0xf bank_mask:0xf// 000000004B3C: 0B2B2AFA FF015910
	v_mul_f32_dpp v150, v16, v150 row_newbcast:10 row_mask:0xf bank_mask:0xf// 000000004B44: 0B2D2CFA FF015A10
	v_mul_f32_dpp v151, v16, v151 row_newbcast:11 row_mask:0xf bank_mask:0xf// 000000004B4C: 0B2F2EFA FF015B10
	v_mul_f32_e32 v152, v14, v152                              // 000000004B54: 0B31310E
	v_mul_f32_e32 v153, v14, v153                              // 000000004B58: 0B33330E
	v_mul_f32_e32 v154, v14, v154                              // 000000004B5C: 0B35350E
	v_mul_f32_e32 v155, v14, v155                              // 000000004B60: 0B37370E
	v_mul_f32_dpp v152, v16, v152 row_newbcast:12 row_mask:0xf bank_mask:0xf// 000000004B64: 0B3130FA FF015C10
	v_mul_f32_dpp v153, v16, v153 row_newbcast:13 row_mask:0xf bank_mask:0xf// 000000004B6C: 0B3332FA FF015D10
	v_mul_f32_dpp v154, v16, v154 row_newbcast:14 row_mask:0xf bank_mask:0xf// 000000004B74: 0B3534FA FF015E10
	v_mul_f32_dpp v155, v16, v155 row_newbcast:15 row_mask:0xf bank_mask:0xf// 000000004B7C: 0B3736FA FF015F10
	v_mul_f32_e32 v156, v15, v156                              // 000000004B84: 0B39390F
	v_mul_f32_e32 v157, v15, v157                              // 000000004B88: 0B3B3B0F
	v_mul_f32_e32 v158, v15, v158                              // 000000004B8C: 0B3D3D0F
	v_mul_f32_e32 v159, v15, v159                              // 000000004B90: 0B3F3F0F
	v_mul_f32_dpp v156, v16, v156 row_newbcast:12 row_mask:0xf bank_mask:0xf// 000000004B94: 0B3938FA FF015C10
	v_mul_f32_dpp v157, v16, v157 row_newbcast:13 row_mask:0xf bank_mask:0xf// 000000004B9C: 0B3B3AFA FF015D10
	v_mul_f32_dpp v158, v16, v158 row_newbcast:14 row_mask:0xf bank_mask:0xf// 000000004BA4: 0B3D3CFA FF015E10
	v_mul_f32_dpp v159, v16, v159 row_newbcast:15 row_mask:0xf bank_mask:0xf// 000000004BAC: 0B3F3EFA FF015F10
	v_mul_f32_e32 v160, v14, v160                              // 000000004BB4: 0B41410E
	v_mul_f32_e32 v161, v14, v161                              // 000000004BB8: 0B43430E
	v_mul_f32_e32 v162, v14, v162                              // 000000004BBC: 0B45450E
	v_mul_f32_e32 v163, v14, v163                              // 000000004BC0: 0B47470E
	v_mul_f32_dpp v160, v17, v160 row_newbcast:0 row_mask:0xf bank_mask:0xf// 000000004BC4: 0B4140FA FF015011
	v_mul_f32_dpp v161, v17, v161 row_newbcast:1 row_mask:0xf bank_mask:0xf// 000000004BCC: 0B4342FA FF015111
	v_mul_f32_dpp v162, v17, v162 row_newbcast:2 row_mask:0xf bank_mask:0xf// 000000004BD4: 0B4544FA FF015211
	v_mul_f32_dpp v163, v17, v163 row_newbcast:3 row_mask:0xf bank_mask:0xf// 000000004BDC: 0B4746FA FF015311
	v_mul_f32_e32 v164, v15, v164                              // 000000004BE4: 0B49490F
	v_mul_f32_e32 v165, v15, v165                              // 000000004BE8: 0B4B4B0F
	v_mul_f32_e32 v166, v15, v166                              // 000000004BEC: 0B4D4D0F
	v_mul_f32_e32 v167, v15, v167                              // 000000004BF0: 0B4F4F0F
	v_mul_f32_dpp v164, v17, v164 row_newbcast:0 row_mask:0xf bank_mask:0xf// 000000004BF4: 0B4948FA FF015011
	v_mul_f32_dpp v165, v17, v165 row_newbcast:1 row_mask:0xf bank_mask:0xf// 000000004BFC: 0B4B4AFA FF015111
	v_mul_f32_dpp v166, v17, v166 row_newbcast:2 row_mask:0xf bank_mask:0xf// 000000004C04: 0B4D4CFA FF015211
	v_mul_f32_dpp v167, v17, v167 row_newbcast:3 row_mask:0xf bank_mask:0xf// 000000004C0C: 0B4F4EFA FF015311
	v_mul_f32_e32 v168, v14, v168                              // 000000004C14: 0B51510E
	v_mul_f32_e32 v169, v14, v169                              // 000000004C18: 0B53530E
	v_mul_f32_e32 v170, v14, v170                              // 000000004C1C: 0B55550E
	v_mul_f32_e32 v171, v14, v171                              // 000000004C20: 0B57570E
	v_mul_f32_dpp v168, v17, v168 row_newbcast:4 row_mask:0xf bank_mask:0xf// 000000004C24: 0B5150FA FF015411
	v_mul_f32_dpp v169, v17, v169 row_newbcast:5 row_mask:0xf bank_mask:0xf// 000000004C2C: 0B5352FA FF015511
	v_mul_f32_dpp v170, v17, v170 row_newbcast:6 row_mask:0xf bank_mask:0xf// 000000004C34: 0B5554FA FF015611
	v_mul_f32_dpp v171, v17, v171 row_newbcast:7 row_mask:0xf bank_mask:0xf// 000000004C3C: 0B5756FA FF015711
	v_mul_f32_e32 v172, v15, v172                              // 000000004C44: 0B59590F
	v_mul_f32_e32 v173, v15, v173                              // 000000004C48: 0B5B5B0F
	v_mul_f32_e32 v174, v15, v174                              // 000000004C4C: 0B5D5D0F
	v_mul_f32_e32 v175, v15, v175                              // 000000004C50: 0B5F5F0F
	v_mul_f32_dpp v172, v17, v172 row_newbcast:4 row_mask:0xf bank_mask:0xf// 000000004C54: 0B5958FA FF015411
	v_mul_f32_dpp v173, v17, v173 row_newbcast:5 row_mask:0xf bank_mask:0xf// 000000004C5C: 0B5B5AFA FF015511
	v_mul_f32_dpp v174, v17, v174 row_newbcast:6 row_mask:0xf bank_mask:0xf// 000000004C64: 0B5D5CFA FF015611
	v_mul_f32_dpp v175, v17, v175 row_newbcast:7 row_mask:0xf bank_mask:0xf// 000000004C6C: 0B5F5EFA FF015711
	v_mul_f32_e32 v176, v14, v176                              // 000000004C74: 0B61610E
	v_mul_f32_e32 v177, v14, v177                              // 000000004C78: 0B63630E
	v_mul_f32_e32 v178, v14, v178                              // 000000004C7C: 0B65650E
	v_mul_f32_e32 v179, v14, v179                              // 000000004C80: 0B67670E
	v_mul_f32_dpp v176, v17, v176 row_newbcast:8 row_mask:0xf bank_mask:0xf// 000000004C84: 0B6160FA FF015811
	v_mul_f32_dpp v177, v17, v177 row_newbcast:9 row_mask:0xf bank_mask:0xf// 000000004C8C: 0B6362FA FF015911
	v_mul_f32_dpp v178, v17, v178 row_newbcast:10 row_mask:0xf bank_mask:0xf// 000000004C94: 0B6564FA FF015A11
	v_mul_f32_dpp v179, v17, v179 row_newbcast:11 row_mask:0xf bank_mask:0xf// 000000004C9C: 0B6766FA FF015B11
	v_mul_f32_e32 v180, v15, v180                              // 000000004CA4: 0B69690F
	v_mul_f32_e32 v181, v15, v181                              // 000000004CA8: 0B6B6B0F
	v_mul_f32_e32 v182, v15, v182                              // 000000004CAC: 0B6D6D0F
	v_mul_f32_e32 v183, v15, v183                              // 000000004CB0: 0B6F6F0F
	v_mul_f32_dpp v180, v17, v180 row_newbcast:8 row_mask:0xf bank_mask:0xf// 000000004CB4: 0B6968FA FF015811
	v_mul_f32_dpp v181, v17, v181 row_newbcast:9 row_mask:0xf bank_mask:0xf// 000000004CBC: 0B6B6AFA FF015911
	v_mul_f32_dpp v182, v17, v182 row_newbcast:10 row_mask:0xf bank_mask:0xf// 000000004CC4: 0B6D6CFA FF015A11
	v_mul_f32_dpp v183, v17, v183 row_newbcast:11 row_mask:0xf bank_mask:0xf// 000000004CCC: 0B6F6EFA FF015B11
	v_mul_f32_e32 v64, v14, v64                                // 000000004CD4: 0A80810E
	v_mul_f32_e32 v65, v14, v65                                // 000000004CD8: 0A82830E
	v_mul_f32_e32 v66, v14, v66                                // 000000004CDC: 0A84850E
	v_mul_f32_e32 v67, v14, v67                                // 000000004CE0: 0A86870E
	v_mul_f32_dpp v64, v49, v64 row_newbcast:0 row_mask:0xf bank_mask:0xf// 000000004CE4: 0A8080FA FF015031
	v_mul_f32_dpp v65, v49, v65 row_newbcast:1 row_mask:0xf bank_mask:0xf// 000000004CEC: 0A8282FA FF015131
	v_mul_f32_dpp v66, v49, v66 row_newbcast:2 row_mask:0xf bank_mask:0xf// 000000004CF4: 0A8484FA FF015231
	v_mul_f32_dpp v67, v49, v67 row_newbcast:3 row_mask:0xf bank_mask:0xf// 000000004CFC: 0A8686FA FF015331
	v_mul_f32_e32 v68, v15, v68                                // 000000004D04: 0A88890F
	v_mul_f32_e32 v69, v15, v69                                // 000000004D08: 0A8A8B0F
	v_mul_f32_e32 v70, v15, v70                                // 000000004D0C: 0A8C8D0F
	v_mul_f32_e32 v71, v15, v71                                // 000000004D10: 0A8E8F0F
	v_mul_f32_dpp v68, v49, v68 row_newbcast:0 row_mask:0xf bank_mask:0xf// 000000004D14: 0A8888FA FF015031
	v_mul_f32_dpp v69, v49, v69 row_newbcast:1 row_mask:0xf bank_mask:0xf// 000000004D1C: 0A8A8AFA FF015131
	v_mul_f32_dpp v70, v49, v70 row_newbcast:2 row_mask:0xf bank_mask:0xf// 000000004D24: 0A8C8CFA FF015231
	v_mul_f32_dpp v71, v49, v71 row_newbcast:3 row_mask:0xf bank_mask:0xf// 000000004D2C: 0A8E8EFA FF015331
	v_mul_f32_e32 v72, v14, v72                                // 000000004D34: 0A90910E
	v_mul_f32_e32 v73, v14, v73                                // 000000004D38: 0A92930E
	v_mul_f32_e32 v74, v14, v74                                // 000000004D3C: 0A94950E
	v_mul_f32_e32 v75, v14, v75                                // 000000004D40: 0A96970E
	v_mul_f32_dpp v72, v49, v72 row_newbcast:4 row_mask:0xf bank_mask:0xf// 000000004D44: 0A9090FA FF015431
	v_mul_f32_dpp v73, v49, v73 row_newbcast:5 row_mask:0xf bank_mask:0xf// 000000004D4C: 0A9292FA FF015531
	v_mul_f32_dpp v74, v49, v74 row_newbcast:6 row_mask:0xf bank_mask:0xf// 000000004D54: 0A9494FA FF015631
	v_mul_f32_dpp v75, v49, v75 row_newbcast:7 row_mask:0xf bank_mask:0xf// 000000004D5C: 0A9696FA FF015731
	v_mul_f32_e32 v76, v15, v76                                // 000000004D64: 0A98990F
	v_mul_f32_e32 v77, v15, v77                                // 000000004D68: 0A9A9B0F
	v_mul_f32_e32 v78, v15, v78                                // 000000004D6C: 0A9C9D0F
	v_mul_f32_e32 v79, v15, v79                                // 000000004D70: 0A9E9F0F
	v_mul_f32_dpp v76, v49, v76 row_newbcast:4 row_mask:0xf bank_mask:0xf// 000000004D74: 0A9898FA FF015431
	v_mul_f32_dpp v77, v49, v77 row_newbcast:5 row_mask:0xf bank_mask:0xf// 000000004D7C: 0A9A9AFA FF015531
	v_mul_f32_dpp v78, v49, v78 row_newbcast:6 row_mask:0xf bank_mask:0xf// 000000004D84: 0A9C9CFA FF015631
	v_mul_f32_dpp v79, v49, v79 row_newbcast:7 row_mask:0xf bank_mask:0xf// 000000004D8C: 0A9E9EFA FF015731
	v_mul_f32_e32 v80, v14, v80                                // 000000004D94: 0AA0A10E
	v_mul_f32_e32 v81, v14, v81                                // 000000004D98: 0AA2A30E
	v_mul_f32_e32 v82, v14, v82                                // 000000004D9C: 0AA4A50E
	v_mul_f32_e32 v83, v14, v83                                // 000000004DA0: 0AA6A70E
	v_mul_f32_dpp v80, v49, v80 row_newbcast:8 row_mask:0xf bank_mask:0xf// 000000004DA4: 0AA0A0FA FF015831
	v_mul_f32_dpp v81, v49, v81 row_newbcast:9 row_mask:0xf bank_mask:0xf// 000000004DAC: 0AA2A2FA FF015931
	v_mul_f32_dpp v82, v49, v82 row_newbcast:10 row_mask:0xf bank_mask:0xf// 000000004DB4: 0AA4A4FA FF015A31
	v_mul_f32_dpp v83, v49, v83 row_newbcast:11 row_mask:0xf bank_mask:0xf// 000000004DBC: 0AA6A6FA FF015B31
	v_mul_f32_e32 v84, v15, v84                                // 000000004DC4: 0AA8A90F
	v_mul_f32_e32 v85, v15, v85                                // 000000004DC8: 0AAAAB0F
	v_mul_f32_e32 v86, v15, v86                                // 000000004DCC: 0AACAD0F
	v_mul_f32_e32 v87, v15, v87                                // 000000004DD0: 0AAEAF0F
	v_mul_f32_dpp v84, v49, v84 row_newbcast:8 row_mask:0xf bank_mask:0xf// 000000004DD4: 0AA8A8FA FF015831
	v_mul_f32_dpp v85, v49, v85 row_newbcast:9 row_mask:0xf bank_mask:0xf// 000000004DDC: 0AAAAAFA FF015931
	v_mul_f32_dpp v86, v49, v86 row_newbcast:10 row_mask:0xf bank_mask:0xf// 000000004DE4: 0AACACFA FF015A31
	v_mul_f32_dpp v87, v49, v87 row_newbcast:11 row_mask:0xf bank_mask:0xf// 000000004DEC: 0AAEAEFA FF015B31
	v_mul_f32_e32 v88, v14, v88                                // 000000004DF4: 0AB0B10E
	v_mul_f32_e32 v89, v14, v89                                // 000000004DF8: 0AB2B30E
	v_mul_f32_e32 v90, v14, v90                                // 000000004DFC: 0AB4B50E
	v_mul_f32_e32 v91, v14, v91                                // 000000004E00: 0AB6B70E
	v_mul_f32_dpp v88, v49, v88 row_newbcast:12 row_mask:0xf bank_mask:0xf// 000000004E04: 0AB0B0FA FF015C31
	v_mul_f32_dpp v89, v49, v89 row_newbcast:13 row_mask:0xf bank_mask:0xf// 000000004E0C: 0AB2B2FA FF015D31
	v_mul_f32_dpp v90, v49, v90 row_newbcast:14 row_mask:0xf bank_mask:0xf// 000000004E14: 0AB4B4FA FF015E31
	v_mul_f32_dpp v91, v49, v91 row_newbcast:15 row_mask:0xf bank_mask:0xf// 000000004E1C: 0AB6B6FA FF015F31
	v_mul_f32_e32 v92, v15, v92                                // 000000004E24: 0AB8B90F
	v_mul_f32_e32 v93, v15, v93                                // 000000004E28: 0ABABB0F
	v_mul_f32_e32 v94, v15, v94                                // 000000004E2C: 0ABCBD0F
	v_mul_f32_e32 v95, v15, v95                                // 000000004E30: 0ABEBF0F
	v_mul_f32_dpp v92, v49, v92 row_newbcast:12 row_mask:0xf bank_mask:0xf// 000000004E34: 0AB8B8FA FF015C31
	v_mul_f32_dpp v93, v49, v93 row_newbcast:13 row_mask:0xf bank_mask:0xf// 000000004E3C: 0ABABAFA FF015D31
	v_mul_f32_dpp v94, v49, v94 row_newbcast:14 row_mask:0xf bank_mask:0xf// 000000004E44: 0ABCBCFA FF015E31
	v_mul_f32_dpp v95, v49, v95 row_newbcast:15 row_mask:0xf bank_mask:0xf// 000000004E4C: 0ABEBEFA FF015F31
	v_mul_f32_e32 v96, v14, v96                                // 000000004E54: 0AC0C10E
	v_mul_f32_e32 v97, v14, v97                                // 000000004E58: 0AC2C30E
	v_mul_f32_e32 v98, v14, v98                                // 000000004E5C: 0AC4C50E
	v_mul_f32_e32 v99, v14, v99                                // 000000004E60: 0AC6C70E
	v_mul_f32_dpp v96, v50, v96 row_newbcast:0 row_mask:0xf bank_mask:0xf// 000000004E64: 0AC0C0FA FF015032
	v_mul_f32_dpp v97, v50, v97 row_newbcast:1 row_mask:0xf bank_mask:0xf// 000000004E6C: 0AC2C2FA FF015132
	v_mul_f32_dpp v98, v50, v98 row_newbcast:2 row_mask:0xf bank_mask:0xf// 000000004E74: 0AC4C4FA FF015232
	v_mul_f32_dpp v99, v50, v99 row_newbcast:3 row_mask:0xf bank_mask:0xf// 000000004E7C: 0AC6C6FA FF015332
	v_mul_f32_e32 v100, v15, v100                              // 000000004E84: 0AC8C90F
	v_mul_f32_e32 v101, v15, v101                              // 000000004E88: 0ACACB0F
	v_mul_f32_e32 v102, v15, v102                              // 000000004E8C: 0ACCCD0F
	v_mul_f32_e32 v103, v15, v103                              // 000000004E90: 0ACECF0F
	v_mul_f32_dpp v100, v50, v100 row_newbcast:0 row_mask:0xf bank_mask:0xf// 000000004E94: 0AC8C8FA FF015032
	v_mul_f32_dpp v101, v50, v101 row_newbcast:1 row_mask:0xf bank_mask:0xf// 000000004E9C: 0ACACAFA FF015132
	v_mul_f32_dpp v102, v50, v102 row_newbcast:2 row_mask:0xf bank_mask:0xf// 000000004EA4: 0ACCCCFA FF015232
	v_mul_f32_dpp v103, v50, v103 row_newbcast:3 row_mask:0xf bank_mask:0xf// 000000004EAC: 0ACECEFA FF015332
	v_mul_f32_e32 v104, v14, v104                              // 000000004EB4: 0AD0D10E
	v_mul_f32_e32 v105, v14, v105                              // 000000004EB8: 0AD2D30E
	v_mul_f32_e32 v106, v14, v106                              // 000000004EBC: 0AD4D50E
	v_mul_f32_e32 v107, v14, v107                              // 000000004EC0: 0AD6D70E
	v_mul_f32_dpp v104, v50, v104 row_newbcast:4 row_mask:0xf bank_mask:0xf// 000000004EC4: 0AD0D0FA FF015432
	v_mul_f32_dpp v105, v50, v105 row_newbcast:5 row_mask:0xf bank_mask:0xf// 000000004ECC: 0AD2D2FA FF015532
	v_mul_f32_dpp v106, v50, v106 row_newbcast:6 row_mask:0xf bank_mask:0xf// 000000004ED4: 0AD4D4FA FF015632
	v_mul_f32_dpp v107, v50, v107 row_newbcast:7 row_mask:0xf bank_mask:0xf// 000000004EDC: 0AD6D6FA FF015732
	v_mul_f32_e32 v108, v15, v108                              // 000000004EE4: 0AD8D90F
	v_mul_f32_e32 v109, v15, v109                              // 000000004EE8: 0ADADB0F
	v_mul_f32_e32 v110, v15, v110                              // 000000004EEC: 0ADCDD0F
	v_mul_f32_e32 v111, v15, v111                              // 000000004EF0: 0ADEDF0F
	v_mul_f32_dpp v108, v50, v108 row_newbcast:4 row_mask:0xf bank_mask:0xf// 000000004EF4: 0AD8D8FA FF015432
	v_mul_f32_dpp v109, v50, v109 row_newbcast:5 row_mask:0xf bank_mask:0xf// 000000004EFC: 0ADADAFA FF015532
	v_mul_f32_dpp v110, v50, v110 row_newbcast:6 row_mask:0xf bank_mask:0xf// 000000004F04: 0ADCDCFA FF015632
	v_mul_f32_dpp v111, v50, v111 row_newbcast:7 row_mask:0xf bank_mask:0xf// 000000004F0C: 0ADEDEFA FF015732
	v_mul_f32_e32 v112, v14, v112                              // 000000004F14: 0AE0E10E
	v_mul_f32_e32 v113, v14, v113                              // 000000004F18: 0AE2E30E
	v_mul_f32_e32 v114, v14, v114                              // 000000004F1C: 0AE4E50E
	v_mul_f32_e32 v115, v14, v115                              // 000000004F20: 0AE6E70E
	v_mul_f32_dpp v112, v50, v112 row_newbcast:8 row_mask:0xf bank_mask:0xf// 000000004F24: 0AE0E0FA FF015832
	v_mul_f32_dpp v113, v50, v113 row_newbcast:9 row_mask:0xf bank_mask:0xf// 000000004F2C: 0AE2E2FA FF015932
	v_mul_f32_dpp v114, v50, v114 row_newbcast:10 row_mask:0xf bank_mask:0xf// 000000004F34: 0AE4E4FA FF015A32
	v_mul_f32_dpp v115, v50, v115 row_newbcast:11 row_mask:0xf bank_mask:0xf// 000000004F3C: 0AE6E6FA FF015B32
	v_mul_f32_e32 v116, v15, v116                              // 000000004F44: 0AE8E90F
	v_mul_f32_e32 v117, v15, v117                              // 000000004F48: 0AEAEB0F
	v_mul_f32_e32 v118, v15, v118                              // 000000004F4C: 0AECED0F
	v_mul_f32_e32 v119, v15, v119                              // 000000004F50: 0AEEEF0F
	v_mul_f32_dpp v116, v50, v116 row_newbcast:8 row_mask:0xf bank_mask:0xf// 000000004F54: 0AE8E8FA FF015832
	v_mul_f32_dpp v117, v50, v117 row_newbcast:9 row_mask:0xf bank_mask:0xf// 000000004F5C: 0AEAEAFA FF015932
	v_mul_f32_dpp v118, v50, v118 row_newbcast:10 row_mask:0xf bank_mask:0xf// 000000004F64: 0AECECFA FF015A32
	v_mul_f32_dpp v119, v50, v119 row_newbcast:11 row_mask:0xf bank_mask:0xf// 000000004F6C: 0AEEEEFA FF015B32
	s_waitcnt vmcnt(24)                                        // 000000004F74: BF8C4F78
	buffer_load_dwordx4 a[0:3], v41, s[12:15], 0 offen         // 000000004F78: E05C1000 80830029
	v_mul_f32_e64 v52, -v128, s6                               // 000000004F80: D1050034 20000D80
	v_mul_f32_e64 v53, -v129, s6                               // 000000004F88: D1050035 20000D81
	v_mul_f32_e64 v54, -v130, s6                               // 000000004F90: D1050036 20000D82
	v_mul_f32_e64 v55, -v131, s6                               // 000000004F98: D1050037 20000D83
	v_exp_f32_e32 v52, v52                                     // 000000004FA0: 7E684134
	v_exp_f32_e32 v53, v53                                     // 000000004FA4: 7E6A4135
	v_exp_f32_e32 v54, v54                                     // 000000004FA8: 7E6C4136
	v_exp_f32_e32 v55, v55                                     // 000000004FAC: 7E6E4137
	buffer_load_dwordx4 a[4:7], v42, s[12:15], 0 offen         // 000000004FB0: E05C1000 8083042A
	v_add_f32_e64 v52, v52, 1.0                                // 000000004FB8: D1010034 0001E534
	v_add_f32_e64 v53, v53, 1.0                                // 000000004FC0: D1010035 0001E535
	v_add_f32_e64 v54, v54, 1.0                                // 000000004FC8: D1010036 0001E536
	v_add_f32_e64 v55, v55, 1.0                                // 000000004FD0: D1010037 0001E537
	v_rcp_f32_e32 v52, v52                                     // 000000004FD8: 7E684534
	v_rcp_f32_e32 v53, v53                                     // 000000004FDC: 7E6A4535
	v_rcp_f32_e32 v54, v54                                     // 000000004FE0: 7E6C4536
	v_rcp_f32_e32 v55, v55                                     // 000000004FE4: 7E6E4537
	v_mul_f32_e32 v128, v128, v52                              // 000000004FE8: 0B006980
	v_mul_f32_e32 v129, v129, v53                              // 000000004FEC: 0B026B81
	v_mul_f32_e32 v130, v130, v54                              // 000000004FF0: 0B046D82
	v_mul_f32_e32 v131, v131, v55                              // 000000004FF4: 0B066F83
	v_mul_f32_e32 v128, v128, v64                              // 000000004FF8: 0B008180
	v_mul_f32_e32 v129, v129, v65                              // 000000004FFC: 0B028381
	v_mul_f32_e32 v130, v130, v66                              // 000000005000: 0B048582
	v_mul_f32_e32 v131, v131, v67                              // 000000005004: 0B068783
	buffer_load_dwordx4 a[8:11], v43, s[12:15], 0 offen        // 000000005008: E05C1000 8083082B
	v_mul_f32_e64 v52, -v132, s6                               // 000000005010: D1050034 20000D84
	v_mul_f32_e64 v53, -v133, s6                               // 000000005018: D1050035 20000D85
	v_mul_f32_e64 v54, -v134, s6                               // 000000005020: D1050036 20000D86
	v_mul_f32_e64 v55, -v135, s6                               // 000000005028: D1050037 20000D87
	v_exp_f32_e32 v52, v52                                     // 000000005030: 7E684134
	v_exp_f32_e32 v53, v53                                     // 000000005034: 7E6A4135
	v_exp_f32_e32 v54, v54                                     // 000000005038: 7E6C4136
	v_exp_f32_e32 v55, v55                                     // 00000000503C: 7E6E4137
	buffer_load_dwordx4 a[12:15], v44, s[12:15], 0 offen       // 000000005040: E05C1000 80830C2C
	s_add_u32 s12, s78, s12                                    // 000000005048: 800C0C4E
	s_addc_u32 s13, 0, s13                                     // 00000000504C: 820D0D80
	v_add_f32_e64 v52, v52, 1.0                                // 000000005050: D1010034 0001E534
	v_add_f32_e64 v53, v53, 1.0                                // 000000005058: D1010035 0001E535
	v_add_f32_e64 v54, v54, 1.0                                // 000000005060: D1010036 0001E536
	v_add_f32_e64 v55, v55, 1.0                                // 000000005068: D1010037 0001E537
	v_rcp_f32_e32 v52, v52                                     // 000000005070: 7E684534
	v_rcp_f32_e32 v53, v53                                     // 000000005074: 7E6A4535
	v_rcp_f32_e32 v54, v54                                     // 000000005078: 7E6C4536
	v_rcp_f32_e32 v55, v55                                     // 00000000507C: 7E6E4537
	v_mul_f32_e32 v132, v132, v52                              // 000000005080: 0B086984
	v_mul_f32_e32 v133, v133, v53                              // 000000005084: 0B0A6B85
	v_mul_f32_e32 v134, v134, v54                              // 000000005088: 0B0C6D86
	v_mul_f32_e32 v135, v135, v55                              // 00000000508C: 0B0E6F87
	v_mul_f32_e32 v132, v132, v68                              // 000000005090: 0B088984
	v_mul_f32_e32 v133, v133, v69                              // 000000005094: 0B0A8B85
	v_mul_f32_e32 v134, v134, v70                              // 000000005098: 0B0C8D86
	v_mul_f32_e32 v135, v135, v71                              // 00000000509C: 0B0E8F87
	s_waitcnt vmcnt(24)                                        // 0000000050A0: BF8C4F78
	buffer_load_dwordx4 a[16:19], v41, s[12:15], 0 offen       // 0000000050A4: E05C1000 80831029
	v_mul_f32_e64 v52, -v136, s6                               // 0000000050AC: D1050034 20000D88
	v_mul_f32_e64 v53, -v137, s6                               // 0000000050B4: D1050035 20000D89
	v_mul_f32_e64 v54, -v138, s6                               // 0000000050BC: D1050036 20000D8A
	v_mul_f32_e64 v55, -v139, s6                               // 0000000050C4: D1050037 20000D8B
	v_exp_f32_e32 v52, v52                                     // 0000000050CC: 7E684134
	v_exp_f32_e32 v53, v53                                     // 0000000050D0: 7E6A4135
	v_exp_f32_e32 v54, v54                                     // 0000000050D4: 7E6C4136
	v_exp_f32_e32 v55, v55                                     // 0000000050D8: 7E6E4137
	buffer_load_dwordx4 a[20:23], v42, s[12:15], 0 offen       // 0000000050DC: E05C1000 8083142A
	v_add_f32_e64 v52, v52, 1.0                                // 0000000050E4: D1010034 0001E534
	v_add_f32_e64 v53, v53, 1.0                                // 0000000050EC: D1010035 0001E535
	v_add_f32_e64 v54, v54, 1.0                                // 0000000050F4: D1010036 0001E536
	v_add_f32_e64 v55, v55, 1.0                                // 0000000050FC: D1010037 0001E537
	v_rcp_f32_e32 v52, v52                                     // 000000005104: 7E684534
	v_rcp_f32_e32 v53, v53                                     // 000000005108: 7E6A4535
	v_rcp_f32_e32 v54, v54                                     // 00000000510C: 7E6C4536
	v_rcp_f32_e32 v55, v55                                     // 000000005110: 7E6E4537
	v_mul_f32_e32 v136, v136, v52                              // 000000005114: 0B106988
	v_mul_f32_e32 v137, v137, v53                              // 000000005118: 0B126B89
	v_mul_f32_e32 v138, v138, v54                              // 00000000511C: 0B146D8A
	v_mul_f32_e32 v139, v139, v55                              // 000000005120: 0B166F8B
	v_mul_f32_e32 v136, v136, v72                              // 000000005124: 0B109188
	v_mul_f32_e32 v137, v137, v73                              // 000000005128: 0B129389
	v_mul_f32_e32 v138, v138, v74                              // 00000000512C: 0B14958A
	v_mul_f32_e32 v139, v139, v75                              // 000000005130: 0B16978B
	buffer_load_dwordx4 a[24:27], v43, s[12:15], 0 offen       // 000000005134: E05C1000 8083182B
	v_mul_f32_e64 v52, -v140, s6                               // 00000000513C: D1050034 20000D8C
	v_mul_f32_e64 v53, -v141, s6                               // 000000005144: D1050035 20000D8D
	v_mul_f32_e64 v54, -v142, s6                               // 00000000514C: D1050036 20000D8E
	v_mul_f32_e64 v55, -v143, s6                               // 000000005154: D1050037 20000D8F
	v_exp_f32_e32 v52, v52                                     // 00000000515C: 7E684134
	v_exp_f32_e32 v53, v53                                     // 000000005160: 7E6A4135
	v_exp_f32_e32 v54, v54                                     // 000000005164: 7E6C4136
	v_exp_f32_e32 v55, v55                                     // 000000005168: 7E6E4137
	buffer_load_dwordx4 a[28:31], v44, s[12:15], 0 offen       // 00000000516C: E05C1000 80831C2C
	s_add_u32 s12, s78, s12                                    // 000000005174: 800C0C4E
	s_addc_u32 s13, 0, s13                                     // 000000005178: 820D0D80
	v_add_f32_e64 v52, v52, 1.0                                // 00000000517C: D1010034 0001E534
	v_add_f32_e64 v53, v53, 1.0                                // 000000005184: D1010035 0001E535
	v_add_f32_e64 v54, v54, 1.0                                // 00000000518C: D1010036 0001E536
	v_add_f32_e64 v55, v55, 1.0                                // 000000005194: D1010037 0001E537
	v_rcp_f32_e32 v52, v52                                     // 00000000519C: 7E684534
	v_rcp_f32_e32 v53, v53                                     // 0000000051A0: 7E6A4535
	v_rcp_f32_e32 v54, v54                                     // 0000000051A4: 7E6C4536
	v_rcp_f32_e32 v55, v55                                     // 0000000051A8: 7E6E4537
	v_mul_f32_e32 v140, v140, v52                              // 0000000051AC: 0B18698C
	v_mul_f32_e32 v141, v141, v53                              // 0000000051B0: 0B1A6B8D
	v_mul_f32_e32 v142, v142, v54                              // 0000000051B4: 0B1C6D8E
	v_mul_f32_e32 v143, v143, v55                              // 0000000051B8: 0B1E6F8F
	v_mul_f32_e32 v140, v140, v76                              // 0000000051BC: 0B18998C
	v_mul_f32_e32 v141, v141, v77                              // 0000000051C0: 0B1A9B8D
	v_mul_f32_e32 v142, v142, v78                              // 0000000051C4: 0B1C9D8E
	v_mul_f32_e32 v143, v143, v79                              // 0000000051C8: 0B1E9F8F
	s_waitcnt vmcnt(24)                                        // 0000000051CC: BF8C4F78
	buffer_load_dwordx4 a[32:35], v41, s[12:15], 0 offen       // 0000000051D0: E05C1000 80832029
	v_mul_f32_e64 v52, -v144, s6                               // 0000000051D8: D1050034 20000D90
	v_mul_f32_e64 v53, -v145, s6                               // 0000000051E0: D1050035 20000D91
	v_mul_f32_e64 v54, -v146, s6                               // 0000000051E8: D1050036 20000D92
	v_mul_f32_e64 v55, -v147, s6                               // 0000000051F0: D1050037 20000D93
	v_exp_f32_e32 v52, v52                                     // 0000000051F8: 7E684134
	v_exp_f32_e32 v53, v53                                     // 0000000051FC: 7E6A4135
	v_exp_f32_e32 v54, v54                                     // 000000005200: 7E6C4136
	v_exp_f32_e32 v55, v55                                     // 000000005204: 7E6E4137
	buffer_load_dwordx4 a[36:39], v42, s[12:15], 0 offen       // 000000005208: E05C1000 8083242A
	v_add_f32_e64 v52, v52, 1.0                                // 000000005210: D1010034 0001E534
	v_add_f32_e64 v53, v53, 1.0                                // 000000005218: D1010035 0001E535
	v_add_f32_e64 v54, v54, 1.0                                // 000000005220: D1010036 0001E536
	v_add_f32_e64 v55, v55, 1.0                                // 000000005228: D1010037 0001E537
	v_rcp_f32_e32 v52, v52                                     // 000000005230: 7E684534
	v_rcp_f32_e32 v53, v53                                     // 000000005234: 7E6A4535
	v_rcp_f32_e32 v54, v54                                     // 000000005238: 7E6C4536
	v_rcp_f32_e32 v55, v55                                     // 00000000523C: 7E6E4537
	v_mul_f32_e32 v144, v144, v52                              // 000000005240: 0B206990
	v_mul_f32_e32 v145, v145, v53                              // 000000005244: 0B226B91
	v_mul_f32_e32 v146, v146, v54                              // 000000005248: 0B246D92
	v_mul_f32_e32 v147, v147, v55                              // 00000000524C: 0B266F93
	v_mul_f32_e32 v144, v144, v80                              // 000000005250: 0B20A190
	v_mul_f32_e32 v145, v145, v81                              // 000000005254: 0B22A391
	v_mul_f32_e32 v146, v146, v82                              // 000000005258: 0B24A592
	v_mul_f32_e32 v147, v147, v83                              // 00000000525C: 0B26A793
	buffer_load_dwordx4 a[40:43], v43, s[12:15], 0 offen       // 000000005260: E05C1000 8083282B
	v_mul_f32_e64 v52, -v148, s6                               // 000000005268: D1050034 20000D94
	v_mul_f32_e64 v53, -v149, s6                               // 000000005270: D1050035 20000D95
	v_mul_f32_e64 v54, -v150, s6                               // 000000005278: D1050036 20000D96
	v_mul_f32_e64 v55, -v151, s6                               // 000000005280: D1050037 20000D97
	v_exp_f32_e32 v52, v52                                     // 000000005288: 7E684134
	v_exp_f32_e32 v53, v53                                     // 00000000528C: 7E6A4135
	v_exp_f32_e32 v54, v54                                     // 000000005290: 7E6C4136
	v_exp_f32_e32 v55, v55                                     // 000000005294: 7E6E4137
	buffer_load_dwordx4 a[44:47], v44, s[12:15], 0 offen       // 000000005298: E05C1000 80832C2C
	s_add_u32 s12, s78, s12                                    // 0000000052A0: 800C0C4E
	s_addc_u32 s13, 0, s13                                     // 0000000052A4: 820D0D80
	v_add_f32_e64 v52, v52, 1.0                                // 0000000052A8: D1010034 0001E534
	v_add_f32_e64 v53, v53, 1.0                                // 0000000052B0: D1010035 0001E535
	v_add_f32_e64 v54, v54, 1.0                                // 0000000052B8: D1010036 0001E536
	v_add_f32_e64 v55, v55, 1.0                                // 0000000052C0: D1010037 0001E537
	v_rcp_f32_e32 v52, v52                                     // 0000000052C8: 7E684534
	v_rcp_f32_e32 v53, v53                                     // 0000000052CC: 7E6A4535
	v_rcp_f32_e32 v54, v54                                     // 0000000052D0: 7E6C4536
	v_rcp_f32_e32 v55, v55                                     // 0000000052D4: 7E6E4537
	v_mul_f32_e32 v148, v148, v52                              // 0000000052D8: 0B286994
	v_mul_f32_e32 v149, v149, v53                              // 0000000052DC: 0B2A6B95
	v_mul_f32_e32 v150, v150, v54                              // 0000000052E0: 0B2C6D96
	v_mul_f32_e32 v151, v151, v55                              // 0000000052E4: 0B2E6F97
	v_mul_f32_e32 v148, v148, v84                              // 0000000052E8: 0B28A994
	v_mul_f32_e32 v149, v149, v85                              // 0000000052EC: 0B2AAB95
	v_mul_f32_e32 v150, v150, v86                              // 0000000052F0: 0B2CAD96
	v_mul_f32_e32 v151, v151, v87                              // 0000000052F4: 0B2EAF97
	s_waitcnt vmcnt(24)                                        // 0000000052F8: BF8C4F78
	buffer_load_dwordx4 a[48:51], v41, s[12:15], 0 offen       // 0000000052FC: E05C1000 80833029
	v_mul_f32_e64 v52, -v152, s6                               // 000000005304: D1050034 20000D98
	v_mul_f32_e64 v53, -v153, s6                               // 00000000530C: D1050035 20000D99
	v_mul_f32_e64 v54, -v154, s6                               // 000000005314: D1050036 20000D9A
	v_mul_f32_e64 v55, -v155, s6                               // 00000000531C: D1050037 20000D9B
	v_exp_f32_e32 v52, v52                                     // 000000005324: 7E684134
	v_exp_f32_e32 v53, v53                                     // 000000005328: 7E6A4135
	v_exp_f32_e32 v54, v54                                     // 00000000532C: 7E6C4136
	v_exp_f32_e32 v55, v55                                     // 000000005330: 7E6E4137
	buffer_load_dwordx4 a[52:55], v42, s[12:15], 0 offen       // 000000005334: E05C1000 8083342A
	v_add_f32_e64 v52, v52, 1.0                                // 00000000533C: D1010034 0001E534
	v_add_f32_e64 v53, v53, 1.0                                // 000000005344: D1010035 0001E535
	v_add_f32_e64 v54, v54, 1.0                                // 00000000534C: D1010036 0001E536
	v_add_f32_e64 v55, v55, 1.0                                // 000000005354: D1010037 0001E537
	v_rcp_f32_e32 v52, v52                                     // 00000000535C: 7E684534
	v_rcp_f32_e32 v53, v53                                     // 000000005360: 7E6A4535
	v_rcp_f32_e32 v54, v54                                     // 000000005364: 7E6C4536
	v_rcp_f32_e32 v55, v55                                     // 000000005368: 7E6E4537
	v_mul_f32_e32 v152, v152, v52                              // 00000000536C: 0B306998
	v_mul_f32_e32 v153, v153, v53                              // 000000005370: 0B326B99
	v_mul_f32_e32 v154, v154, v54                              // 000000005374: 0B346D9A
	v_mul_f32_e32 v155, v155, v55                              // 000000005378: 0B366F9B
	v_mul_f32_e32 v152, v152, v88                              // 00000000537C: 0B30B198
	v_mul_f32_e32 v153, v153, v89                              // 000000005380: 0B32B399
	v_mul_f32_e32 v154, v154, v90                              // 000000005384: 0B34B59A
	v_mul_f32_e32 v155, v155, v91                              // 000000005388: 0B36B79B
	buffer_load_dwordx4 a[56:59], v43, s[12:15], 0 offen       // 00000000538C: E05C1000 8083382B
	v_mul_f32_e64 v52, -v156, s6                               // 000000005394: D1050034 20000D9C
	v_mul_f32_e64 v53, -v157, s6                               // 00000000539C: D1050035 20000D9D
	v_mul_f32_e64 v54, -v158, s6                               // 0000000053A4: D1050036 20000D9E
	v_mul_f32_e64 v55, -v159, s6                               // 0000000053AC: D1050037 20000D9F
	v_exp_f32_e32 v52, v52                                     // 0000000053B4: 7E684134
	v_exp_f32_e32 v53, v53                                     // 0000000053B8: 7E6A4135
	v_exp_f32_e32 v54, v54                                     // 0000000053BC: 7E6C4136
	v_exp_f32_e32 v55, v55                                     // 0000000053C0: 7E6E4137
	buffer_load_dwordx4 a[60:63], v44, s[12:15], 0 offen       // 0000000053C4: E05C1000 80833C2C
	s_add_u32 s12, s78, s12                                    // 0000000053CC: 800C0C4E
	s_addc_u32 s13, 0, s13                                     // 0000000053D0: 820D0D80
	v_add_f32_e64 v52, v52, 1.0                                // 0000000053D4: D1010034 0001E534
	v_add_f32_e64 v53, v53, 1.0                                // 0000000053DC: D1010035 0001E535
	v_add_f32_e64 v54, v54, 1.0                                // 0000000053E4: D1010036 0001E536
	v_add_f32_e64 v55, v55, 1.0                                // 0000000053EC: D1010037 0001E537
	v_rcp_f32_e32 v52, v52                                     // 0000000053F4: 7E684534
	v_rcp_f32_e32 v53, v53                                     // 0000000053F8: 7E6A4535
	v_rcp_f32_e32 v54, v54                                     // 0000000053FC: 7E6C4536
	v_rcp_f32_e32 v55, v55                                     // 000000005400: 7E6E4537
	v_mul_f32_e32 v156, v156, v52                              // 000000005404: 0B38699C
	v_mul_f32_e32 v157, v157, v53                              // 000000005408: 0B3A6B9D
	v_mul_f32_e32 v158, v158, v54                              // 00000000540C: 0B3C6D9E
	v_mul_f32_e32 v159, v159, v55                              // 000000005410: 0B3E6F9F
	v_mul_f32_e32 v156, v156, v92                              // 000000005414: 0B38B99C
	v_mul_f32_e32 v157, v157, v93                              // 000000005418: 0B3ABB9D
	v_mul_f32_e32 v158, v158, v94                              // 00000000541C: 0B3CBD9E
	v_mul_f32_e32 v159, v159, v95                              // 000000005420: 0B3EBF9F
	s_waitcnt vmcnt(24)                                        // 000000005424: BF8C4F78
	buffer_load_dwordx4 a[64:67], v41, s[12:15], 0 offen       // 000000005428: E05C1000 80834029
	v_mul_f32_e64 v52, -v160, s6                               // 000000005430: D1050034 20000DA0
	v_mul_f32_e64 v53, -v161, s6                               // 000000005438: D1050035 20000DA1
	v_mul_f32_e64 v54, -v162, s6                               // 000000005440: D1050036 20000DA2
	v_mul_f32_e64 v55, -v163, s6                               // 000000005448: D1050037 20000DA3
	v_exp_f32_e32 v52, v52                                     // 000000005450: 7E684134
	v_exp_f32_e32 v53, v53                                     // 000000005454: 7E6A4135
	v_exp_f32_e32 v54, v54                                     // 000000005458: 7E6C4136
	v_exp_f32_e32 v55, v55                                     // 00000000545C: 7E6E4137
	buffer_load_dwordx4 a[68:71], v42, s[12:15], 0 offen       // 000000005460: E05C1000 8083442A
	v_add_f32_e64 v52, v52, 1.0                                // 000000005468: D1010034 0001E534
	v_add_f32_e64 v53, v53, 1.0                                // 000000005470: D1010035 0001E535
	v_add_f32_e64 v54, v54, 1.0                                // 000000005478: D1010036 0001E536
	v_add_f32_e64 v55, v55, 1.0                                // 000000005480: D1010037 0001E537
	v_rcp_f32_e32 v52, v52                                     // 000000005488: 7E684534
	v_rcp_f32_e32 v53, v53                                     // 00000000548C: 7E6A4535
	v_rcp_f32_e32 v54, v54                                     // 000000005490: 7E6C4536
	v_rcp_f32_e32 v55, v55                                     // 000000005494: 7E6E4537
	v_mul_f32_e32 v160, v160, v52                              // 000000005498: 0B4069A0
	v_mul_f32_e32 v161, v161, v53                              // 00000000549C: 0B426BA1
	v_mul_f32_e32 v162, v162, v54                              // 0000000054A0: 0B446DA2
	v_mul_f32_e32 v163, v163, v55                              // 0000000054A4: 0B466FA3
	v_mul_f32_e32 v160, v160, v96                              // 0000000054A8: 0B40C1A0
	v_mul_f32_e32 v161, v161, v97                              // 0000000054AC: 0B42C3A1
	v_mul_f32_e32 v162, v162, v98                              // 0000000054B0: 0B44C5A2
	v_mul_f32_e32 v163, v163, v99                              // 0000000054B4: 0B46C7A3
	buffer_load_dwordx4 a[72:75], v43, s[12:15], 0 offen       // 0000000054B8: E05C1000 8083482B
	v_mul_f32_e64 v52, -v164, s6                               // 0000000054C0: D1050034 20000DA4
	v_mul_f32_e64 v53, -v165, s6                               // 0000000054C8: D1050035 20000DA5
	v_mul_f32_e64 v54, -v166, s6                               // 0000000054D0: D1050036 20000DA6
	v_mul_f32_e64 v55, -v167, s6                               // 0000000054D8: D1050037 20000DA7
	v_exp_f32_e32 v52, v52                                     // 0000000054E0: 7E684134
	v_exp_f32_e32 v53, v53                                     // 0000000054E4: 7E6A4135
	v_exp_f32_e32 v54, v54                                     // 0000000054E8: 7E6C4136
	v_exp_f32_e32 v55, v55                                     // 0000000054EC: 7E6E4137
	buffer_load_dwordx4 a[76:79], v44, s[12:15], 0 offen       // 0000000054F0: E05C1000 80834C2C
	s_add_u32 s12, s78, s12                                    // 0000000054F8: 800C0C4E
	s_addc_u32 s13, 0, s13                                     // 0000000054FC: 820D0D80
	v_add_f32_e64 v52, v52, 1.0                                // 000000005500: D1010034 0001E534
	v_add_f32_e64 v53, v53, 1.0                                // 000000005508: D1010035 0001E535
	v_add_f32_e64 v54, v54, 1.0                                // 000000005510: D1010036 0001E536
	v_add_f32_e64 v55, v55, 1.0                                // 000000005518: D1010037 0001E537
	v_rcp_f32_e32 v52, v52                                     // 000000005520: 7E684534
	v_rcp_f32_e32 v53, v53                                     // 000000005524: 7E6A4535
	v_rcp_f32_e32 v54, v54                                     // 000000005528: 7E6C4536
	v_rcp_f32_e32 v55, v55                                     // 00000000552C: 7E6E4537
	v_mul_f32_e32 v164, v164, v52                              // 000000005530: 0B4869A4
	v_mul_f32_e32 v165, v165, v53                              // 000000005534: 0B4A6BA5
	v_mul_f32_e32 v166, v166, v54                              // 000000005538: 0B4C6DA6
	v_mul_f32_e32 v167, v167, v55                              // 00000000553C: 0B4E6FA7
	v_mul_f32_e32 v164, v164, v100                             // 000000005540: 0B48C9A4
	v_mul_f32_e32 v165, v165, v101                             // 000000005544: 0B4ACBA5
	v_mul_f32_e32 v166, v166, v102                             // 000000005548: 0B4CCDA6
	v_mul_f32_e32 v167, v167, v103                             // 00000000554C: 0B4ECFA7
	s_waitcnt vmcnt(24)                                        // 000000005550: BF8C4F78
	buffer_load_dwordx4 a[80:83], v41, s[12:15], 0 offen       // 000000005554: E05C1000 80835029
	v_mul_f32_e64 v52, -v168, s6                               // 00000000555C: D1050034 20000DA8
	v_mul_f32_e64 v53, -v169, s6                               // 000000005564: D1050035 20000DA9
	v_mul_f32_e64 v54, -v170, s6                               // 00000000556C: D1050036 20000DAA
	v_mul_f32_e64 v55, -v171, s6                               // 000000005574: D1050037 20000DAB
	v_exp_f32_e32 v52, v52                                     // 00000000557C: 7E684134
	v_exp_f32_e32 v53, v53                                     // 000000005580: 7E6A4135
	v_exp_f32_e32 v54, v54                                     // 000000005584: 7E6C4136
	v_exp_f32_e32 v55, v55                                     // 000000005588: 7E6E4137
	buffer_load_dwordx4 a[84:87], v42, s[12:15], 0 offen       // 00000000558C: E05C1000 8083542A
	v_add_f32_e64 v52, v52, 1.0                                // 000000005594: D1010034 0001E534
	v_add_f32_e64 v53, v53, 1.0                                // 00000000559C: D1010035 0001E535
	v_add_f32_e64 v54, v54, 1.0                                // 0000000055A4: D1010036 0001E536
	v_add_f32_e64 v55, v55, 1.0                                // 0000000055AC: D1010037 0001E537
	v_rcp_f32_e32 v52, v52                                     // 0000000055B4: 7E684534
	v_rcp_f32_e32 v53, v53                                     // 0000000055B8: 7E6A4535
	v_rcp_f32_e32 v54, v54                                     // 0000000055BC: 7E6C4536
	v_rcp_f32_e32 v55, v55                                     // 0000000055C0: 7E6E4537
	v_mul_f32_e32 v168, v168, v52                              // 0000000055C4: 0B5069A8
	v_mul_f32_e32 v169, v169, v53                              // 0000000055C8: 0B526BA9
	v_mul_f32_e32 v170, v170, v54                              // 0000000055CC: 0B546DAA
	v_mul_f32_e32 v171, v171, v55                              // 0000000055D0: 0B566FAB
	v_mul_f32_e32 v168, v168, v104                             // 0000000055D4: 0B50D1A8
	v_mul_f32_e32 v169, v169, v105                             // 0000000055D8: 0B52D3A9
	v_mul_f32_e32 v170, v170, v106                             // 0000000055DC: 0B54D5AA
	v_mul_f32_e32 v171, v171, v107                             // 0000000055E0: 0B56D7AB
	buffer_load_dwordx4 a[88:91], v43, s[12:15], 0 offen       // 0000000055E4: E05C1000 8083582B
	v_mul_f32_e64 v52, -v172, s6                               // 0000000055EC: D1050034 20000DAC
	v_mul_f32_e64 v53, -v173, s6                               // 0000000055F4: D1050035 20000DAD
	v_mul_f32_e64 v54, -v174, s6                               // 0000000055FC: D1050036 20000DAE
	v_mul_f32_e64 v55, -v175, s6                               // 000000005604: D1050037 20000DAF
	v_exp_f32_e32 v52, v52                                     // 00000000560C: 7E684134
	v_exp_f32_e32 v53, v53                                     // 000000005610: 7E6A4135
	v_exp_f32_e32 v54, v54                                     // 000000005614: 7E6C4136
	v_exp_f32_e32 v55, v55                                     // 000000005618: 7E6E4137
	buffer_load_dwordx4 a[92:95], v44, s[12:15], 0 offen       // 00000000561C: E05C1000 80835C2C
	s_add_u32 s12, s78, s12                                    // 000000005624: 800C0C4E
	s_addc_u32 s13, 0, s13                                     // 000000005628: 820D0D80
	v_add_f32_e64 v52, v52, 1.0                                // 00000000562C: D1010034 0001E534
	v_add_f32_e64 v53, v53, 1.0                                // 000000005634: D1010035 0001E535
	v_add_f32_e64 v54, v54, 1.0                                // 00000000563C: D1010036 0001E536
	v_add_f32_e64 v55, v55, 1.0                                // 000000005644: D1010037 0001E537
	v_rcp_f32_e32 v52, v52                                     // 00000000564C: 7E684534
	v_rcp_f32_e32 v53, v53                                     // 000000005650: 7E6A4535
	v_rcp_f32_e32 v54, v54                                     // 000000005654: 7E6C4536
	v_rcp_f32_e32 v55, v55                                     // 000000005658: 7E6E4537
	v_mul_f32_e32 v172, v172, v52                              // 00000000565C: 0B5869AC
	v_mul_f32_e32 v173, v173, v53                              // 000000005660: 0B5A6BAD
	v_mul_f32_e32 v174, v174, v54                              // 000000005664: 0B5C6DAE
	v_mul_f32_e32 v175, v175, v55                              // 000000005668: 0B5E6FAF
	v_mul_f32_e32 v172, v172, v108                             // 00000000566C: 0B58D9AC
	v_mul_f32_e32 v173, v173, v109                             // 000000005670: 0B5ADBAD
	v_mul_f32_e32 v174, v174, v110                             // 000000005674: 0B5CDDAE
	v_mul_f32_e32 v175, v175, v111                             // 000000005678: 0B5EDFAF
	s_waitcnt vmcnt(24)                                        // 00000000567C: BF8C4F78
	buffer_load_dwordx4 a[96:99], v41, s[12:15], 0 offen       // 000000005680: E05C1000 80836029
	v_mul_f32_e64 v52, -v176, s6                               // 000000005688: D1050034 20000DB0
	v_mul_f32_e64 v53, -v177, s6                               // 000000005690: D1050035 20000DB1
	v_mul_f32_e64 v54, -v178, s6                               // 000000005698: D1050036 20000DB2
	v_mul_f32_e64 v55, -v179, s6                               // 0000000056A0: D1050037 20000DB3
	v_exp_f32_e32 v52, v52                                     // 0000000056A8: 7E684134
	v_exp_f32_e32 v53, v53                                     // 0000000056AC: 7E6A4135
	v_exp_f32_e32 v54, v54                                     // 0000000056B0: 7E6C4136
	v_exp_f32_e32 v55, v55                                     // 0000000056B4: 7E6E4137
	buffer_load_dwordx4 a[100:103], v42, s[12:15], 0 offen     // 0000000056B8: E05C1000 8083642A
	v_add_f32_e64 v52, v52, 1.0                                // 0000000056C0: D1010034 0001E534
	v_add_f32_e64 v53, v53, 1.0                                // 0000000056C8: D1010035 0001E535
	v_add_f32_e64 v54, v54, 1.0                                // 0000000056D0: D1010036 0001E536
	v_add_f32_e64 v55, v55, 1.0                                // 0000000056D8: D1010037 0001E537
	v_rcp_f32_e32 v52, v52                                     // 0000000056E0: 7E684534
	v_rcp_f32_e32 v53, v53                                     // 0000000056E4: 7E6A4535
	v_rcp_f32_e32 v54, v54                                     // 0000000056E8: 7E6C4536
	v_rcp_f32_e32 v55, v55                                     // 0000000056EC: 7E6E4537
	v_mul_f32_e32 v176, v176, v52                              // 0000000056F0: 0B6069B0
	v_mul_f32_e32 v177, v177, v53                              // 0000000056F4: 0B626BB1
	v_mul_f32_e32 v178, v178, v54                              // 0000000056F8: 0B646DB2
	v_mul_f32_e32 v179, v179, v55                              // 0000000056FC: 0B666FB3
	v_mul_f32_e32 v176, v176, v112                             // 000000005700: 0B60E1B0
	v_mul_f32_e32 v177, v177, v113                             // 000000005704: 0B62E3B1
	v_mul_f32_e32 v178, v178, v114                             // 000000005708: 0B64E5B2
	v_mul_f32_e32 v179, v179, v115                             // 00000000570C: 0B66E7B3
	buffer_load_dwordx4 a[104:107], v43, s[12:15], 0 offen     // 000000005710: E05C1000 8083682B
	v_mul_f32_e64 v52, -v180, s6                               // 000000005718: D1050034 20000DB4
	v_mul_f32_e64 v53, -v181, s6                               // 000000005720: D1050035 20000DB5
	v_mul_f32_e64 v54, -v182, s6                               // 000000005728: D1050036 20000DB6
	v_mul_f32_e64 v55, -v183, s6                               // 000000005730: D1050037 20000DB7
	v_exp_f32_e32 v52, v52                                     // 000000005738: 7E684134
	v_exp_f32_e32 v53, v53                                     // 00000000573C: 7E6A4135
	v_exp_f32_e32 v54, v54                                     // 000000005740: 7E6C4136
	v_exp_f32_e32 v55, v55                                     // 000000005744: 7E6E4137
	buffer_load_dwordx4 a[108:111], v44, s[12:15], 0 offen     // 000000005748: E05C1000 80836C2C
	v_add_f32_e64 v52, v52, 1.0                                // 000000005750: D1010034 0001E534
	v_add_f32_e64 v53, v53, 1.0                                // 000000005758: D1010035 0001E535
	v_add_f32_e64 v54, v54, 1.0                                // 000000005760: D1010036 0001E536
	v_add_f32_e64 v55, v55, 1.0                                // 000000005768: D1010037 0001E537
	v_rcp_f32_e32 v52, v52                                     // 000000005770: 7E684534
	v_rcp_f32_e32 v53, v53                                     // 000000005774: 7E6A4535
	v_rcp_f32_e32 v54, v54                                     // 000000005778: 7E6C4536
	v_rcp_f32_e32 v55, v55                                     // 00000000577C: 7E6E4537
	v_mul_f32_e32 v180, v180, v52                              // 000000005780: 0B6869B4
	v_mul_f32_e32 v181, v181, v53                              // 000000005784: 0B6A6BB5
	v_mul_f32_e32 v182, v182, v54                              // 000000005788: 0B6C6DB6
	v_mul_f32_e32 v183, v183, v55                              // 00000000578C: 0B6E6FB7
	v_mul_f32_e32 v180, v180, v116                             // 000000005790: 0B68E9B4
	v_mul_f32_e32 v181, v181, v117                             // 000000005794: 0B6AEBB5
	v_mul_f32_e32 v182, v182, v118                             // 000000005798: 0B6CEDB6
	v_mul_f32_e32 v183, v183, v119                             // 00000000579C: 0B6EEFB7
	v_mul_f32_dpp v128, v18, v128 row_newbcast:0 row_mask:0xf bank_mask:0xf// 0000000057A0: 0B0100FA FF015012
	v_mul_f32_dpp v129, v18, v129 row_newbcast:1 row_mask:0xf bank_mask:0xf// 0000000057A8: 0B0302FA FF015112
	v_mul_f32_dpp v130, v18, v130 row_newbcast:2 row_mask:0xf bank_mask:0xf// 0000000057B0: 0B0504FA FF015212
	v_mul_f32_dpp v131, v18, v131 row_newbcast:3 row_mask:0xf bank_mask:0xf// 0000000057B8: 0B0706FA FF015312
	v_mul_f32_dpp v132, v18, v132 row_newbcast:0 row_mask:0xf bank_mask:0xf// 0000000057C0: 0B0908FA FF015012
	v_mul_f32_dpp v133, v18, v133 row_newbcast:1 row_mask:0xf bank_mask:0xf// 0000000057C8: 0B0B0AFA FF015112
	v_mul_f32_dpp v134, v18, v134 row_newbcast:2 row_mask:0xf bank_mask:0xf// 0000000057D0: 0B0D0CFA FF015212
	v_mul_f32_dpp v135, v18, v135 row_newbcast:3 row_mask:0xf bank_mask:0xf// 0000000057D8: 0B0F0EFA FF015312
	v_mul_f32_dpp v136, v18, v136 row_newbcast:4 row_mask:0xf bank_mask:0xf// 0000000057E0: 0B1110FA FF015412
	v_mul_f32_dpp v137, v18, v137 row_newbcast:5 row_mask:0xf bank_mask:0xf// 0000000057E8: 0B1312FA FF015512
	v_mul_f32_dpp v138, v18, v138 row_newbcast:6 row_mask:0xf bank_mask:0xf// 0000000057F0: 0B1514FA FF015612
	v_mul_f32_dpp v139, v18, v139 row_newbcast:7 row_mask:0xf bank_mask:0xf// 0000000057F8: 0B1716FA FF015712
	v_mul_f32_dpp v140, v18, v140 row_newbcast:4 row_mask:0xf bank_mask:0xf// 000000005800: 0B1918FA FF015412
	v_mul_f32_dpp v141, v18, v141 row_newbcast:5 row_mask:0xf bank_mask:0xf// 000000005808: 0B1B1AFA FF015512
	v_mul_f32_dpp v142, v18, v142 row_newbcast:6 row_mask:0xf bank_mask:0xf// 000000005810: 0B1D1CFA FF015612
	v_mul_f32_dpp v143, v18, v143 row_newbcast:7 row_mask:0xf bank_mask:0xf// 000000005818: 0B1F1EFA FF015712
	v_mul_f32_dpp v144, v18, v144 row_newbcast:8 row_mask:0xf bank_mask:0xf// 000000005820: 0B2120FA FF015812
	v_mul_f32_dpp v145, v18, v145 row_newbcast:9 row_mask:0xf bank_mask:0xf// 000000005828: 0B2322FA FF015912
	v_mul_f32_dpp v146, v18, v146 row_newbcast:10 row_mask:0xf bank_mask:0xf// 000000005830: 0B2524FA FF015A12
	v_mul_f32_dpp v147, v18, v147 row_newbcast:11 row_mask:0xf bank_mask:0xf// 000000005838: 0B2726FA FF015B12
	v_mul_f32_dpp v148, v18, v148 row_newbcast:8 row_mask:0xf bank_mask:0xf// 000000005840: 0B2928FA FF015812
	v_mul_f32_dpp v149, v18, v149 row_newbcast:9 row_mask:0xf bank_mask:0xf// 000000005848: 0B2B2AFA FF015912
	v_mul_f32_dpp v150, v18, v150 row_newbcast:10 row_mask:0xf bank_mask:0xf// 000000005850: 0B2D2CFA FF015A12
	v_mul_f32_dpp v151, v18, v151 row_newbcast:11 row_mask:0xf bank_mask:0xf// 000000005858: 0B2F2EFA FF015B12
	v_mul_f32_dpp v152, v18, v152 row_newbcast:12 row_mask:0xf bank_mask:0xf// 000000005860: 0B3130FA FF015C12
	v_mul_f32_dpp v153, v18, v153 row_newbcast:13 row_mask:0xf bank_mask:0xf// 000000005868: 0B3332FA FF015D12
	v_mul_f32_dpp v154, v18, v154 row_newbcast:14 row_mask:0xf bank_mask:0xf// 000000005870: 0B3534FA FF015E12
	v_mul_f32_dpp v155, v18, v155 row_newbcast:15 row_mask:0xf bank_mask:0xf// 000000005878: 0B3736FA FF015F12
	v_mul_f32_dpp v156, v18, v156 row_newbcast:12 row_mask:0xf bank_mask:0xf// 000000005880: 0B3938FA FF015C12
	v_mul_f32_dpp v157, v18, v157 row_newbcast:13 row_mask:0xf bank_mask:0xf// 000000005888: 0B3B3AFA FF015D12
	v_mul_f32_dpp v158, v18, v158 row_newbcast:14 row_mask:0xf bank_mask:0xf// 000000005890: 0B3D3CFA FF015E12
	v_mul_f32_dpp v159, v18, v159 row_newbcast:15 row_mask:0xf bank_mask:0xf// 000000005898: 0B3F3EFA FF015F12
	v_mul_f32_dpp v160, v19, v160 row_newbcast:0 row_mask:0xf bank_mask:0xf// 0000000058A0: 0B4140FA FF015013
	v_mul_f32_dpp v161, v19, v161 row_newbcast:1 row_mask:0xf bank_mask:0xf// 0000000058A8: 0B4342FA FF015113
	v_mul_f32_dpp v162, v19, v162 row_newbcast:2 row_mask:0xf bank_mask:0xf// 0000000058B0: 0B4544FA FF015213
	v_mul_f32_dpp v163, v19, v163 row_newbcast:3 row_mask:0xf bank_mask:0xf// 0000000058B8: 0B4746FA FF015313
	v_mul_f32_dpp v164, v19, v164 row_newbcast:0 row_mask:0xf bank_mask:0xf// 0000000058C0: 0B4948FA FF015013
	v_mul_f32_dpp v165, v19, v165 row_newbcast:1 row_mask:0xf bank_mask:0xf// 0000000058C8: 0B4B4AFA FF015113
	v_mul_f32_dpp v166, v19, v166 row_newbcast:2 row_mask:0xf bank_mask:0xf// 0000000058D0: 0B4D4CFA FF015213
	v_mul_f32_dpp v167, v19, v167 row_newbcast:3 row_mask:0xf bank_mask:0xf// 0000000058D8: 0B4F4EFA FF015313
	v_mul_f32_dpp v168, v19, v168 row_newbcast:4 row_mask:0xf bank_mask:0xf// 0000000058E0: 0B5150FA FF015413
	v_mul_f32_dpp v169, v19, v169 row_newbcast:5 row_mask:0xf bank_mask:0xf// 0000000058E8: 0B5352FA FF015513
	v_mul_f32_dpp v170, v19, v170 row_newbcast:6 row_mask:0xf bank_mask:0xf// 0000000058F0: 0B5554FA FF015613
	v_mul_f32_dpp v171, v19, v171 row_newbcast:7 row_mask:0xf bank_mask:0xf// 0000000058F8: 0B5756FA FF015713
	v_mul_f32_dpp v172, v19, v172 row_newbcast:4 row_mask:0xf bank_mask:0xf// 000000005900: 0B5958FA FF015413
	v_mul_f32_dpp v173, v19, v173 row_newbcast:5 row_mask:0xf bank_mask:0xf// 000000005908: 0B5B5AFA FF015513
	v_mul_f32_dpp v174, v19, v174 row_newbcast:6 row_mask:0xf bank_mask:0xf// 000000005910: 0B5D5CFA FF015613
	v_mul_f32_dpp v175, v19, v175 row_newbcast:7 row_mask:0xf bank_mask:0xf// 000000005918: 0B5F5EFA FF015713
	v_mul_f32_dpp v176, v19, v176 row_newbcast:8 row_mask:0xf bank_mask:0xf// 000000005920: 0B6160FA FF015813
	v_mul_f32_dpp v177, v19, v177 row_newbcast:9 row_mask:0xf bank_mask:0xf// 000000005928: 0B6362FA FF015913
	v_mul_f32_dpp v178, v19, v178 row_newbcast:10 row_mask:0xf bank_mask:0xf// 000000005930: 0B6564FA FF015A13
	v_mul_f32_dpp v179, v19, v179 row_newbcast:11 row_mask:0xf bank_mask:0xf// 000000005938: 0B6766FA FF015B13
	v_mul_f32_dpp v180, v19, v180 row_newbcast:8 row_mask:0xf bank_mask:0xf// 000000005940: 0B6968FA FF015813
	v_mul_f32_dpp v181, v19, v181 row_newbcast:9 row_mask:0xf bank_mask:0xf// 000000005948: 0B6B6AFA FF015913
	v_mul_f32_dpp v182, v19, v182 row_newbcast:10 row_mask:0xf bank_mask:0xf// 000000005950: 0B6D6CFA FF015A13
	v_mul_f32_dpp v183, v19, v183 row_newbcast:11 row_mask:0xf bank_mask:0xf// 000000005958: 0B6F6EFA FF015B13
	v_lshlrev_b32_e32 v52, 2, v0                               // 000000005960: 24680082
	s_mul_i32 s60, s82, s71                                    // 000000005964: 923C4752
	v_add_u32_e64 v80, v52, s60                                // 000000005968: D1340050 00007934
	v_mov_b32_e32 v81, 0                                       // 000000005970: 7EA20280
	s_mul_i32 s60, s83, s71                                    // 000000005974: 923C4753
	v_add_u32_e64 v82, v52, s60                                // 000000005978: D1340052 00007934
	v_mov_b32_e32 v83, 0                                       // 000000005980: 7EA60280
	s_mul_i32 s60, s84, s71                                    // 000000005984: 923C4754
	v_add_u32_e64 v84, v52, s60                                // 000000005988: D1340054 00007934
	v_mov_b32_e32 v85, 0                                       // 000000005990: 7EAA0280
	s_mul_i32 s60, s85, s71                                    // 000000005994: 923C4755
	v_add_u32_e64 v86, v52, s60                                // 000000005998: D1340056 00007934
	v_mov_b32_e32 v87, 0                                       // 0000000059A0: 7EAE0280
	s_mul_i32 s60, s86, s71                                    // 0000000059A4: 923C4756
	v_add_u32_e64 v88, v52, s60                                // 0000000059A8: D1340058 00007934
	v_mov_b32_e32 v89, 0                                       // 0000000059B0: 7EB20280
	s_mul_i32 s60, s87, s71                                    // 0000000059B4: 923C4757
	v_add_u32_e64 v90, v52, s60                                // 0000000059B8: D134005A 00007934
	v_mov_b32_e32 v91, 0                                       // 0000000059C0: 7EB60280
	s_mul_i32 s60, s88, s71                                    // 0000000059C4: 923C4758
	v_add_u32_e64 v92, v52, s60                                // 0000000059C8: D134005C 00007934
	v_mov_b32_e32 v93, 0                                       // 0000000059D0: 7EBA0280
	s_mul_i32 s60, s89, s71                                    // 0000000059D4: 923C4759
	v_add_u32_e64 v94, v52, s60                                // 0000000059D8: D134005E 00007934
	v_mov_b32_e32 v95, 0                                       // 0000000059E0: 7EBE0280
	buffer_load_dword v12, v5, s[16:19], 0 offen               // 0000000059E4: E0501000 80040C05
	v_mov_b32_e32 v22, 0x358637bd                              // 0000000059EC: 7E2C02FF 358637BD
	v_mov_b32_e32 v23, 0x358637bd                              // 0000000059F4: 7E2E02FF 358637BD
	v_max3_f32 v22, |v128|, |v129|, v22                        // 0000000059FC: D1D30316 045B0380
	v_max3_f32 v22, |v130|, |v131|, v22                        // 000000005A04: D1D30316 045B0782
	v_max3_f32 v23, |v132|, |v133|, v23                        // 000000005A0C: D1D30317 045F0B84
	v_max3_f32 v23, |v134|, |v135|, v23                        // 000000005A14: D1D30317 045F0F86
	v_max3_f32 v22, |v136|, |v137|, v22                        // 000000005A1C: D1D30316 045B1388
	v_max3_f32 v22, |v138|, |v139|, v22                        // 000000005A24: D1D30316 045B178A
	v_max3_f32 v23, |v140|, |v141|, v23                        // 000000005A2C: D1D30317 045F1B8C
	v_max3_f32 v23, |v142|, |v143|, v23                        // 000000005A34: D1D30317 045F1F8E
	v_max3_f32 v22, |v144|, |v145|, v22                        // 000000005A3C: D1D30316 045B2390
	v_max3_f32 v22, |v146|, |v147|, v22                        // 000000005A44: D1D30316 045B2792
	v_max3_f32 v23, |v148|, |v149|, v23                        // 000000005A4C: D1D30317 045F2B94
	v_max3_f32 v23, |v150|, |v151|, v23                        // 000000005A54: D1D30317 045F2F96
	v_max3_f32 v22, |v152|, |v153|, v22                        // 000000005A5C: D1D30316 045B3398
	v_max3_f32 v22, |v154|, |v155|, v22                        // 000000005A64: D1D30316 045B379A
	v_max3_f32 v23, |v156|, |v157|, v23                        // 000000005A6C: D1D30317 045F3B9C
	v_max3_f32 v23, |v158|, |v159|, v23                        // 000000005A74: D1D30317 045F3F9E
	v_max3_f32 v22, |v160|, |v161|, v22                        // 000000005A7C: D1D30316 045B43A0
	v_max3_f32 v22, |v162|, |v163|, v22                        // 000000005A84: D1D30316 045B47A2
	v_max3_f32 v23, |v164|, |v165|, v23                        // 000000005A8C: D1D30317 045F4BA4
	v_max3_f32 v23, |v166|, |v167|, v23                        // 000000005A94: D1D30317 045F4FA6
	v_max3_f32 v22, |v168|, |v169|, v22                        // 000000005A9C: D1D30316 045B53A8
	v_max3_f32 v22, |v170|, |v171|, v22                        // 000000005AA4: D1D30316 045B57AA
	v_max3_f32 v23, |v172|, |v173|, v23                        // 000000005AAC: D1D30317 045F5BAC
	v_max3_f32 v23, |v174|, |v175|, v23                        // 000000005AB4: D1D30317 045F5FAE
	v_max3_f32 v22, |v176|, |v177|, v22                        // 000000005ABC: D1D30316 045B63B0
	v_max3_f32 v22, |v178|, |v179|, v22                        // 000000005AC4: D1D30316 045B67B2
	v_max3_f32 v23, |v180|, |v181|, v23                        // 000000005ACC: D1D30317 045F6BB4
	v_max3_f32 v23, |v182|, |v183|, v23                        // 000000005AD4: D1D30317 045F6FB6
	v_lshlrev_b32_e32 v52, 3, v0                               // 000000005ADC: 24680083
	s_mul_i32 s60, 0x200, s7                                   // 000000005AE0: 923C07FF 00000200
	v_add_u32_e32 v52, s60, v52                                // 000000005AE8: 6868683C
	ds_write_b64 v52, v[22:23] offset:16640                    // 000000005AEC: D89A4100 00001634
	s_waitcnt lgkmcnt(0)                                       // 000000005AF4: BF8CC07F
	s_barrier                                                  // 000000005AF8: BF8A0000
	v_and_b32_e32 v52, 15, v0                                  // 000000005AFC: 2668008F
	v_lshlrev_b32_e32 v52, 3, v52                              // 000000005B00: 24686883
	ds_read_b64 v[96:97], v52 offset:16640                     // 000000005B04: D8EC4100 60000034
	ds_read_b64 v[98:99], v52 offset:16768                     // 000000005B0C: D8EC4180 62000034
	ds_read_b64 v[100:101], v52 offset:16896                   // 000000005B14: D8EC4200 64000034
	ds_read_b64 v[102:103], v52 offset:17024                   // 000000005B1C: D8EC4280 66000034
	ds_read_b64 v[104:105], v52 offset:17152                   // 000000005B24: D8EC4300 68000034
	ds_read_b64 v[106:107], v52 offset:17280                   // 000000005B2C: D8EC4380 6A000034
	ds_read_b64 v[108:109], v52 offset:17408                   // 000000005B34: D8EC4400 6C000034
	ds_read_b64 v[110:111], v52 offset:17536                   // 000000005B3C: D8EC4480 6E000034
	ds_read_b64 v[112:113], v52 offset:17664                   // 000000005B44: D8EC4500 70000034
	ds_read_b64 v[114:115], v52 offset:17792                   // 000000005B4C: D8EC4580 72000034
	ds_read_b64 v[116:117], v52 offset:17920                   // 000000005B54: D8EC4600 74000034
	ds_read_b64 v[118:119], v52 offset:18048                   // 000000005B5C: D8EC4680 76000034
	ds_read_b64 v[120:121], v52 offset:18176                   // 000000005B64: D8EC4700 78000034
	ds_read_b64 v[122:123], v52 offset:18304                   // 000000005B6C: D8EC4780 7A000034
	ds_read_b64 v[124:125], v52 offset:18432                   // 000000005B74: D8EC4800 7C000034
	ds_read_b64 v[126:127], v52 offset:18560                   // 000000005B7C: D8EC4880 7E000034
	s_waitcnt lgkmcnt(0)                                       // 000000005B84: BF8CC07F
	v_max3_f32 v22, |v96|, |v98|, v22                          // 000000005B88: D1D30316 045AC560
	v_max3_f32 v23, |v97|, |v99|, v23                          // 000000005B90: D1D30317 045EC761
	v_max3_f32 v22, |v100|, |v102|, v22                        // 000000005B98: D1D30316 045ACD64
	v_max3_f32 v23, |v101|, |v103|, v23                        // 000000005BA0: D1D30317 045ECF65
	v_max3_f32 v22, |v104|, |v106|, v22                        // 000000005BA8: D1D30316 045AD568
	v_max3_f32 v23, |v105|, |v107|, v23                        // 000000005BB0: D1D30317 045ED769
	v_max3_f32 v22, |v108|, |v110|, v22                        // 000000005BB8: D1D30316 045ADD6C
	v_max3_f32 v23, |v109|, |v111|, v23                        // 000000005BC0: D1D30317 045EDF6D
	v_max3_f32 v22, |v112|, |v114|, v22                        // 000000005BC8: D1D30316 045AE570
	v_max3_f32 v23, |v113|, |v115|, v23                        // 000000005BD0: D1D30317 045EE771
	v_max3_f32 v22, |v116|, |v118|, v22                        // 000000005BD8: D1D30316 045AED74
	v_max3_f32 v23, |v117|, |v119|, v23                        // 000000005BE0: D1D30317 045EEF75
	v_max3_f32 v22, |v120|, |v122|, v22                        // 000000005BE8: D1D30316 045AF578
	v_max3_f32 v23, |v121|, |v123|, v23                        // 000000005BF0: D1D30317 045EF779
	v_max3_f32 v22, |v124|, |v126|, v22                        // 000000005BF8: D1D30316 045AFD7C
	v_max3_f32 v23, |v125|, |v127|, v23                        // 000000005C00: D1D30317 045EFF7D
	v_rcp_f32_e32 v22, v22                                     // 000000005C08: 7E2C4516
	v_rcp_f32_e32 v23, v23                                     // 000000005C0C: 7E2E4517
	v_mov_b32_e32 v52, 0x43700000                              // 000000005C10: 7E6802FF 43700000
	v_mul_f32_e32 v22, v52, v22                                // 000000005C18: 0A2C2D34
	v_mul_f32_e32 v23, v52, v23                                // 000000005C1C: 0A2E2F34
	v_mul_f32_e32 v128, v22, v128                              // 000000005C20: 0B010116
	v_mul_f32_e32 v129, v22, v129                              // 000000005C24: 0B030316
	v_mul_f32_e32 v130, v22, v130                              // 000000005C28: 0B050516
	v_mul_f32_e32 v131, v22, v131                              // 000000005C2C: 0B070716
	v_cvt_pk_fp8_f32 v128, v128, v129                          // 000000005C30: D2A20080 00030380
	v_cvt_pk_fp8_f32 v128, v130, v131 op_sel:[0,0,1]           // 000000005C38: D2A24080 00030782
	v_mul_f32_e32 v132, v23, v132                              // 000000005C40: 0B090917
	v_mul_f32_e32 v133, v23, v133                              // 000000005C44: 0B0B0B17
	v_mul_f32_e32 v134, v23, v134                              // 000000005C48: 0B0D0D17
	v_mul_f32_e32 v135, v23, v135                              // 000000005C4C: 0B0F0F17
	v_cvt_pk_fp8_f32 v129, v132, v133                          // 000000005C50: D2A20081 00030B84
	v_cvt_pk_fp8_f32 v129, v134, v135 op_sel:[0,0,1]           // 000000005C58: D2A24081 00030F86
	v_mul_f32_e32 v136, v22, v136                              // 000000005C60: 0B111116
	v_mul_f32_e32 v137, v22, v137                              // 000000005C64: 0B131316
	v_mul_f32_e32 v138, v22, v138                              // 000000005C68: 0B151516
	v_mul_f32_e32 v139, v22, v139                              // 000000005C6C: 0B171716
	v_cvt_pk_fp8_f32 v130, v136, v137                          // 000000005C70: D2A20082 00031388
	v_cvt_pk_fp8_f32 v130, v138, v139 op_sel:[0,0,1]           // 000000005C78: D2A24082 0003178A
	v_mul_f32_e32 v140, v23, v140                              // 000000005C80: 0B191917
	v_mul_f32_e32 v141, v23, v141                              // 000000005C84: 0B1B1B17
	v_mul_f32_e32 v142, v23, v142                              // 000000005C88: 0B1D1D17
	v_mul_f32_e32 v143, v23, v143                              // 000000005C8C: 0B1F1F17
	v_cvt_pk_fp8_f32 v131, v140, v141                          // 000000005C90: D2A20083 00031B8C
	v_cvt_pk_fp8_f32 v131, v142, v143 op_sel:[0,0,1]           // 000000005C98: D2A24083 00031F8E
	v_mul_f32_e32 v144, v22, v144                              // 000000005CA0: 0B212116
	v_mul_f32_e32 v145, v22, v145                              // 000000005CA4: 0B232316
	v_mul_f32_e32 v146, v22, v146                              // 000000005CA8: 0B252516
	v_mul_f32_e32 v147, v22, v147                              // 000000005CAC: 0B272716
	v_cvt_pk_fp8_f32 v132, v144, v145                          // 000000005CB0: D2A20084 00032390
	v_cvt_pk_fp8_f32 v132, v146, v147 op_sel:[0,0,1]           // 000000005CB8: D2A24084 00032792
	v_mul_f32_e32 v148, v23, v148                              // 000000005CC0: 0B292917
	v_mul_f32_e32 v149, v23, v149                              // 000000005CC4: 0B2B2B17
	v_mul_f32_e32 v150, v23, v150                              // 000000005CC8: 0B2D2D17
	v_mul_f32_e32 v151, v23, v151                              // 000000005CCC: 0B2F2F17
	v_cvt_pk_fp8_f32 v133, v148, v149                          // 000000005CD0: D2A20085 00032B94
	v_cvt_pk_fp8_f32 v133, v150, v151 op_sel:[0,0,1]           // 000000005CD8: D2A24085 00032F96
	v_mul_f32_e32 v152, v22, v152                              // 000000005CE0: 0B313116
	v_mul_f32_e32 v153, v22, v153                              // 000000005CE4: 0B333316
	v_mul_f32_e32 v154, v22, v154                              // 000000005CE8: 0B353516
	v_mul_f32_e32 v155, v22, v155                              // 000000005CEC: 0B373716
	v_cvt_pk_fp8_f32 v134, v152, v153                          // 000000005CF0: D2A20086 00033398
	v_cvt_pk_fp8_f32 v134, v154, v155 op_sel:[0,0,1]           // 000000005CF8: D2A24086 0003379A
	v_mul_f32_e32 v156, v23, v156                              // 000000005D00: 0B393917
	v_mul_f32_e32 v157, v23, v157                              // 000000005D04: 0B3B3B17
	v_mul_f32_e32 v158, v23, v158                              // 000000005D08: 0B3D3D17
	v_mul_f32_e32 v159, v23, v159                              // 000000005D0C: 0B3F3F17
	v_cvt_pk_fp8_f32 v135, v156, v157                          // 000000005D10: D2A20087 00033B9C
	v_cvt_pk_fp8_f32 v135, v158, v159 op_sel:[0,0,1]           // 000000005D18: D2A24087 00033F9E
	v_mul_f32_e32 v160, v22, v160                              // 000000005D20: 0B414116
	v_mul_f32_e32 v161, v22, v161                              // 000000005D24: 0B434316
	v_mul_f32_e32 v162, v22, v162                              // 000000005D28: 0B454516
	v_mul_f32_e32 v163, v22, v163                              // 000000005D2C: 0B474716
	v_cvt_pk_fp8_f32 v136, v160, v161                          // 000000005D30: D2A20088 000343A0
	v_cvt_pk_fp8_f32 v136, v162, v163 op_sel:[0,0,1]           // 000000005D38: D2A24088 000347A2
	v_mul_f32_e32 v164, v23, v164                              // 000000005D40: 0B494917
	v_mul_f32_e32 v165, v23, v165                              // 000000005D44: 0B4B4B17
	v_mul_f32_e32 v166, v23, v166                              // 000000005D48: 0B4D4D17
	v_mul_f32_e32 v167, v23, v167                              // 000000005D4C: 0B4F4F17
	v_cvt_pk_fp8_f32 v137, v164, v165                          // 000000005D50: D2A20089 00034BA4
	v_cvt_pk_fp8_f32 v137, v166, v167 op_sel:[0,0,1]           // 000000005D58: D2A24089 00034FA6
	v_mul_f32_e32 v168, v22, v168                              // 000000005D60: 0B515116
	v_mul_f32_e32 v169, v22, v169                              // 000000005D64: 0B535316
	v_mul_f32_e32 v170, v22, v170                              // 000000005D68: 0B555516
	v_mul_f32_e32 v171, v22, v171                              // 000000005D6C: 0B575716
	v_cvt_pk_fp8_f32 v138, v168, v169                          // 000000005D70: D2A2008A 000353A8
	v_cvt_pk_fp8_f32 v138, v170, v171 op_sel:[0,0,1]           // 000000005D78: D2A2408A 000357AA
	v_mul_f32_e32 v172, v23, v172                              // 000000005D80: 0B595917
	v_mul_f32_e32 v173, v23, v173                              // 000000005D84: 0B5B5B17
	v_mul_f32_e32 v174, v23, v174                              // 000000005D88: 0B5D5D17
	v_mul_f32_e32 v175, v23, v175                              // 000000005D8C: 0B5F5F17
	v_cvt_pk_fp8_f32 v139, v172, v173                          // 000000005D90: D2A2008B 00035BAC
	v_cvt_pk_fp8_f32 v139, v174, v175 op_sel:[0,0,1]           // 000000005D98: D2A2408B 00035FAE
	v_mul_f32_e32 v176, v22, v176                              // 000000005DA0: 0B616116
	v_mul_f32_e32 v177, v22, v177                              // 000000005DA4: 0B636316
	v_mul_f32_e32 v178, v22, v178                              // 000000005DA8: 0B656516
	v_mul_f32_e32 v179, v22, v179                              // 000000005DAC: 0B676716
	v_cvt_pk_fp8_f32 v140, v176, v177                          // 000000005DB0: D2A2008C 000363B0
	v_cvt_pk_fp8_f32 v140, v178, v179 op_sel:[0,0,1]           // 000000005DB8: D2A2408C 000367B2
	v_mul_f32_e32 v180, v23, v180                              // 000000005DC0: 0B696917
	v_mul_f32_e32 v181, v23, v181                              // 000000005DC4: 0B6B6B17
	v_mul_f32_e32 v182, v23, v182                              // 000000005DC8: 0B6D6D17
	v_mul_f32_e32 v183, v23, v183                              // 000000005DCC: 0B6F6F17
	v_cvt_pk_fp8_f32 v141, v180, v181                          // 000000005DD0: D2A2008D 00036BB4
	v_cvt_pk_fp8_f32 v141, v182, v183 op_sel:[0,0,1]           // 000000005DD8: D2A2408D 00036FB6
	v_rcp_f32_e32 v24, v22                                     // 000000005DE0: 7E304516
	v_rcp_f32_e32 v25, v23                                     // 000000005DE4: 7E324517
	v_lshrrev_b32_e32 v52, 5, v0                               // 000000005DE8: 20680085
	v_lshlrev_b32_e32 v53, 5, v52                              // 000000005DEC: 246A6885
	v_and_b32_e32 v52, 31, v0                                  // 000000005DF0: 2668009F
	v_lshrrev_b32_e32 v54, 4, v52                              // 000000005DF4: 206C6884
	v_add_u32_e32 v53, v54, v53                                // 000000005DF8: 686A6B36
	v_and_b32_e32 v52, 15, v0                                  // 000000005DFC: 2668008F
	v_lshlrev_b32_e32 v52, 1, v52                              // 000000005E00: 24686881
	v_add_u32_e32 v53, v52, v53                                // 000000005E04: 686A6B34
	v_lshlrev_b32_e32 v52, 2, v53                              // 000000005E08: 24686A82
	s_mul_i32 s60, 0x100, s7                                   // 000000005E0C: 923C07FF 00000100
	v_add_u32_e64 v52, v52, s60                                // 000000005E14: D1340034 00007934
	ds_write_b32 v52, v128 offset:18688                        // 000000005E1C: D81A4900 00008034
	ds_write_b32 v52, v129 offset:25856                        // 000000005E24: D81A6500 00008134
	ds_write_b32 v52, v130 offset:19712                        // 000000005E2C: D81A4D00 00008234
	ds_write_b32 v52, v131 offset:26880                        // 000000005E34: D81A6900 00008334
	ds_write_b32 v52, v132 offset:20736                        // 000000005E3C: D81A5100 00008434
	ds_write_b32 v52, v133 offset:27904                        // 000000005E44: D81A6D00 00008534
	ds_write_b32 v52, v134 offset:21760                        // 000000005E4C: D81A5500 00008634
	ds_write_b32 v52, v135 offset:28928                        // 000000005E54: D81A7100 00008734
	ds_write_b32 v52, v136 offset:22784                        // 000000005E5C: D81A5900 00008834
	ds_write_b32 v52, v137 offset:29952                        // 000000005E64: D81A7500 00008934
	ds_write_b32 v52, v138 offset:23808                        // 000000005E6C: D81A5D00 00008A34
	ds_write_b32 v52, v139 offset:30976                        // 000000005E74: D81A7900 00008B34
	ds_write_b32 v52, v140 offset:24832                        // 000000005E7C: D81A6100 00008C34
	ds_write_b32 v52, v141 offset:32000                        // 000000005E84: D81A7D00 00008D34
	s_waitcnt lgkmcnt(0)                                       // 000000005E8C: BF8CC07F
	s_barrier                                                  // 000000005E90: BF8A0000
	v_lshrrev_b32_e32 v52, 4, v0                               // 000000005E94: 20680084
	v_lshlrev_b32_e32 v53, 6, v52                              // 000000005E98: 246A6886
	v_and_b32_e32 v52, 15, v0                                  // 000000005E9C: 2668008F
	v_lshlrev_b32_e32 v52, 1, v52                              // 000000005EA0: 24686881
	v_add_u32_e32 v53, v52, v53                                // 000000005EA4: 686A6B34
	v_lshlrev_b32_e32 v52, 2, v53                              // 000000005EA8: 24686A82
	ds_read_b64 v[128:129], v52 offset:18688                   // 000000005EAC: D8EC4900 80000034
	ds_read_b64 v[130:131], v52 offset:18816                   // 000000005EB4: D8EC4980 82000034
	ds_read_b64 v[132:133], v52 offset:19712                   // 000000005EBC: D8EC4D00 84000034
	ds_read_b64 v[134:135], v52 offset:19840                   // 000000005EC4: D8EC4D80 86000034
	ds_read_b64 v[136:137], v52 offset:20736                   // 000000005ECC: D8EC5100 88000034
	ds_read_b64 v[138:139], v52 offset:20864                   // 000000005ED4: D8EC5180 8A000034
	ds_read_b64 v[140:141], v52 offset:21760                   // 000000005EDC: D8EC5500 8C000034
	ds_read_b64 v[142:143], v52 offset:21888                   // 000000005EE4: D8EC5580 8E000034
	ds_read_b64 v[144:145], v52 offset:22784                   // 000000005EEC: D8EC5900 90000034
	ds_read_b64 v[146:147], v52 offset:22912                   // 000000005EF4: D8EC5980 92000034
	ds_read_b64 v[148:149], v52 offset:23808                   // 000000005EFC: D8EC5D00 94000034
	ds_read_b64 v[150:151], v52 offset:23936                   // 000000005F04: D8EC5D80 96000034
	ds_read_b64 v[152:153], v52 offset:24832                   // 000000005F0C: D8EC6100 98000034
	ds_read_b64 v[154:155], v52 offset:24960                   // 000000005F14: D8EC6180 9A000034
	ds_read_b64 v[156:157], v52 offset:25856                   // 000000005F1C: D8EC6500 9C000034
	ds_read_b64 v[158:159], v52 offset:25984                   // 000000005F24: D8EC6580 9E000034
	ds_read_b64 v[160:161], v52 offset:26880                   // 000000005F2C: D8EC6900 A0000034
	ds_read_b64 v[162:163], v52 offset:27008                   // 000000005F34: D8EC6980 A2000034
	ds_read_b64 v[164:165], v52 offset:27904                   // 000000005F3C: D8EC6D00 A4000034
	ds_read_b64 v[166:167], v52 offset:28032                   // 000000005F44: D8EC6D80 A6000034
	ds_read_b64 v[168:169], v52 offset:28928                   // 000000005F4C: D8EC7100 A8000034
	ds_read_b64 v[170:171], v52 offset:29056                   // 000000005F54: D8EC7180 AA000034
	ds_read_b64 v[172:173], v52 offset:29952                   // 000000005F5C: D8EC7500 AC000034
	ds_read_b64 v[174:175], v52 offset:30080                   // 000000005F64: D8EC7580 AE000034
	ds_read_b64 v[176:177], v52 offset:30976                   // 000000005F6C: D8EC7900 B0000034
	ds_read_b64 v[178:179], v52 offset:31104                   // 000000005F74: D8EC7980 B2000034
	ds_read_b64 v[180:181], v52 offset:32000                   // 000000005F7C: D8EC7D00 B4000034
	ds_read_b64 v[182:183], v52 offset:32128                   // 000000005F84: D8EC7D80 B6000034
	s_add_u32 s12, s56, s12                                    // 000000005F8C: 800C0C38
	s_addc_u32 s13, 0, s13                                     // 000000005F90: 820D0D80
	s_add_u32 s16, s79, s16                                    // 000000005F94: 8010104F
	s_addc_u32 s17, 0, s17                                     // 000000005F98: 82111180
	s_mov_b32 s80, 0                                           // 000000005F9C: BED00080
	s_waitcnt vmcnt(0) expcnt(0) lgkmcnt(0)                    // 000000005FA0: BF8C0000

0000000000005fa4 <label_0D29>:
	s_waitcnt vmcnt(41)                                        // 000000005FA4: BF8C8F79
	s_barrier                                                  // 000000005FA8: BF8A0000
	v_mfma_f32_16x16x32_fp8_fp8 v[184:187], a[0:1], v[128:129], 0// 000000005FAC: D3F300B8 0A030100
	v_mfma_f32_16x16x32_fp8_fp8 v[184:187], a[2:3], v[130:131], v[184:187]// 000000005FB4: D3F300B8 0EE30502
	buffer_load_dwordx4 a[112:115], v41, s[12:15], 0 offen     // 000000005FBC: E05C1000 80837029
	v_mfma_f32_16x16x32_fp8_fp8 v[188:191], a[0:1], v[156:157], 0// 000000005FC4: D3F300BC 0A033900
	v_mfma_f32_16x16x32_fp8_fp8 v[188:191], a[2:3], v[158:159], v[188:191]// 000000005FCC: D3F300BC 0EF33D02
	v_mfma_f32_16x16x32_fp8_fp8 v[192:195], a[4:5], v[128:129], 0// 000000005FD4: D3F300C0 0A030104
	v_mfma_f32_16x16x32_fp8_fp8 v[192:195], a[6:7], v[130:131], v[192:195]// 000000005FDC: D3F300C0 0F030506
	buffer_load_dwordx4 a[116:119], v42, s[12:15], 0 offen     // 000000005FE4: E05C1000 8083742A
	v_mfma_f32_16x16x32_fp8_fp8 v[196:199], a[4:5], v[156:157], 0// 000000005FEC: D3F300C4 0A033904
	v_mfma_f32_16x16x32_fp8_fp8 v[196:199], a[6:7], v[158:159], v[196:199]// 000000005FF4: D3F300C4 0F133D06
	v_mfma_f32_16x16x32_fp8_fp8 v[200:203], a[8:9], v[128:129], 0// 000000005FFC: D3F300C8 0A030108
	v_mfma_f32_16x16x32_fp8_fp8 v[200:203], a[10:11], v[130:131], v[200:203]// 000000006004: D3F300C8 0F23050A
	buffer_load_dwordx4 a[120:123], v43, s[12:15], 0 offen     // 00000000600C: E05C1000 8083782B
	v_mfma_f32_16x16x32_fp8_fp8 v[204:207], a[8:9], v[156:157], 0// 000000006014: D3F300CC 0A033908
	v_mfma_f32_16x16x32_fp8_fp8 v[204:207], a[10:11], v[158:159], v[204:207]// 00000000601C: D3F300CC 0F333D0A
	v_mfma_f32_16x16x32_fp8_fp8 v[208:211], a[12:13], v[128:129], 0// 000000006024: D3F300D0 0A03010C
	v_mfma_f32_16x16x32_fp8_fp8 v[208:211], a[14:15], v[130:131], v[208:211]// 00000000602C: D3F300D0 0F43050E
	buffer_load_dwordx4 a[124:127], v44, s[12:15], 0 offen     // 000000006034: E05C1000 80837C2C
	s_add_u32 s12, s78, s12                                    // 00000000603C: 800C0C4E
	s_addc_u32 s13, 0, s13                                     // 000000006040: 820D0D80
	v_mfma_f32_16x16x32_fp8_fp8 v[212:215], a[12:13], v[156:157], 0// 000000006044: D3F300D4 0A03390C
	v_mfma_f32_16x16x32_fp8_fp8 v[212:215], a[14:15], v[158:159], v[212:215]// 00000000604C: D3F300D4 0F533D0E
	s_waitcnt vmcnt(41)                                        // 000000006054: BF8C8F79
	v_mfma_f32_16x16x32_fp8_fp8 v[184:187], a[16:17], v[132:133], v[184:187]// 000000006058: D3F300B8 0EE30910
	v_mfma_f32_16x16x32_fp8_fp8 v[184:187], a[18:19], v[134:135], v[184:187]// 000000006060: D3F300B8 0EE30D12
	buffer_load_dwordx4 a[128:131], v41, s[12:15], 0 offen     // 000000006068: E05C1000 80838029
	v_mfma_f32_16x16x32_fp8_fp8 v[188:191], a[16:17], v[160:161], v[188:191]// 000000006070: D3F300BC 0EF34110
	v_mfma_f32_16x16x32_fp8_fp8 v[188:191], a[18:19], v[162:163], v[188:191]// 000000006078: D3F300BC 0EF34512
	v_mfma_f32_16x16x32_fp8_fp8 v[192:195], a[20:21], v[132:133], v[192:195]// 000000006080: D3F300C0 0F030914
	v_mfma_f32_16x16x32_fp8_fp8 v[192:195], a[22:23], v[134:135], v[192:195]// 000000006088: D3F300C0 0F030D16
	buffer_load_dwordx4 a[132:135], v42, s[12:15], 0 offen     // 000000006090: E05C1000 8083842A
	v_mfma_f32_16x16x32_fp8_fp8 v[196:199], a[20:21], v[160:161], v[196:199]// 000000006098: D3F300C4 0F134114
	v_mfma_f32_16x16x32_fp8_fp8 v[196:199], a[22:23], v[162:163], v[196:199]// 0000000060A0: D3F300C4 0F134516
	v_mfma_f32_16x16x32_fp8_fp8 v[200:203], a[24:25], v[132:133], v[200:203]// 0000000060A8: D3F300C8 0F230918
	v_mfma_f32_16x16x32_fp8_fp8 v[200:203], a[26:27], v[134:135], v[200:203]// 0000000060B0: D3F300C8 0F230D1A
	buffer_load_dwordx4 a[136:139], v43, s[12:15], 0 offen     // 0000000060B8: E05C1000 8083882B
	v_mfma_f32_16x16x32_fp8_fp8 v[204:207], a[24:25], v[160:161], v[204:207]// 0000000060C0: D3F300CC 0F334118
	v_mfma_f32_16x16x32_fp8_fp8 v[204:207], a[26:27], v[162:163], v[204:207]// 0000000060C8: D3F300CC 0F33451A
	v_mfma_f32_16x16x32_fp8_fp8 v[208:211], a[28:29], v[132:133], v[208:211]// 0000000060D0: D3F300D0 0F43091C
	v_mfma_f32_16x16x32_fp8_fp8 v[208:211], a[30:31], v[134:135], v[208:211]// 0000000060D8: D3F300D0 0F430D1E
	buffer_load_dwordx4 a[140:143], v44, s[12:15], 0 offen     // 0000000060E0: E05C1000 80838C2C
	s_add_u32 s12, s78, s12                                    // 0000000060E8: 800C0C4E
	s_addc_u32 s13, 0, s13                                     // 0000000060EC: 820D0D80
	v_mfma_f32_16x16x32_fp8_fp8 v[212:215], a[28:29], v[160:161], v[212:215]// 0000000060F0: D3F300D4 0F53411C
	v_mfma_f32_16x16x32_fp8_fp8 v[212:215], a[30:31], v[162:163], v[212:215]// 0000000060F8: D3F300D4 0F53451E
	s_waitcnt vmcnt(41)                                        // 000000006100: BF8C8F79
	v_mfma_f32_16x16x32_fp8_fp8 v[184:187], a[32:33], v[136:137], v[184:187]// 000000006104: D3F300B8 0EE31120
	v_mfma_f32_16x16x32_fp8_fp8 v[184:187], a[34:35], v[138:139], v[184:187]// 00000000610C: D3F300B8 0EE31522
	buffer_load_dwordx4 a[144:147], v41, s[12:15], 0 offen     // 000000006114: E05C1000 80839029
	v_mfma_f32_16x16x32_fp8_fp8 v[188:191], a[32:33], v[164:165], v[188:191]// 00000000611C: D3F300BC 0EF34920
	v_mfma_f32_16x16x32_fp8_fp8 v[188:191], a[34:35], v[166:167], v[188:191]// 000000006124: D3F300BC 0EF34D22
	v_mfma_f32_16x16x32_fp8_fp8 v[192:195], a[36:37], v[136:137], v[192:195]// 00000000612C: D3F300C0 0F031124
	v_mfma_f32_16x16x32_fp8_fp8 v[192:195], a[38:39], v[138:139], v[192:195]// 000000006134: D3F300C0 0F031526
	buffer_load_dwordx4 a[148:151], v42, s[12:15], 0 offen     // 00000000613C: E05C1000 8083942A
	v_mfma_f32_16x16x32_fp8_fp8 v[196:199], a[36:37], v[164:165], v[196:199]// 000000006144: D3F300C4 0F134924
	v_mfma_f32_16x16x32_fp8_fp8 v[196:199], a[38:39], v[166:167], v[196:199]// 00000000614C: D3F300C4 0F134D26
	v_mfma_f32_16x16x32_fp8_fp8 v[200:203], a[40:41], v[136:137], v[200:203]// 000000006154: D3F300C8 0F231128
	v_mfma_f32_16x16x32_fp8_fp8 v[200:203], a[42:43], v[138:139], v[200:203]// 00000000615C: D3F300C8 0F23152A
	buffer_load_dwordx4 a[152:155], v43, s[12:15], 0 offen     // 000000006164: E05C1000 8083982B
	v_mfma_f32_16x16x32_fp8_fp8 v[204:207], a[40:41], v[164:165], v[204:207]// 00000000616C: D3F300CC 0F334928
	v_mfma_f32_16x16x32_fp8_fp8 v[204:207], a[42:43], v[166:167], v[204:207]// 000000006174: D3F300CC 0F334D2A
	v_mfma_f32_16x16x32_fp8_fp8 v[208:211], a[44:45], v[136:137], v[208:211]// 00000000617C: D3F300D0 0F43112C
	v_mfma_f32_16x16x32_fp8_fp8 v[208:211], a[46:47], v[138:139], v[208:211]// 000000006184: D3F300D0 0F43152E
	buffer_load_dwordx4 a[156:159], v44, s[12:15], 0 offen     // 00000000618C: E05C1000 80839C2C
	s_add_u32 s12, s78, s12                                    // 000000006194: 800C0C4E
	s_addc_u32 s13, 0, s13                                     // 000000006198: 820D0D80
	v_mfma_f32_16x16x32_fp8_fp8 v[212:215], a[44:45], v[164:165], v[212:215]// 00000000619C: D3F300D4 0F53492C
	v_mfma_f32_16x16x32_fp8_fp8 v[212:215], a[46:47], v[166:167], v[212:215]// 0000000061A4: D3F300D4 0F534D2E
	s_waitcnt vmcnt(41)                                        // 0000000061AC: BF8C8F79
	v_mfma_f32_16x16x32_fp8_fp8 v[184:187], a[48:49], v[140:141], v[184:187]// 0000000061B0: D3F300B8 0EE31930
	v_mfma_f32_16x16x32_fp8_fp8 v[184:187], a[50:51], v[142:143], v[184:187]// 0000000061B8: D3F300B8 0EE31D32
	buffer_load_dwordx4 a[160:163], v41, s[12:15], 0 offen     // 0000000061C0: E05C1000 8083A029
	v_mfma_f32_16x16x32_fp8_fp8 v[188:191], a[48:49], v[168:169], v[188:191]// 0000000061C8: D3F300BC 0EF35130
	v_mfma_f32_16x16x32_fp8_fp8 v[188:191], a[50:51], v[170:171], v[188:191]// 0000000061D0: D3F300BC 0EF35532
	v_mfma_f32_16x16x32_fp8_fp8 v[192:195], a[52:53], v[140:141], v[192:195]// 0000000061D8: D3F300C0 0F031934
	v_mfma_f32_16x16x32_fp8_fp8 v[192:195], a[54:55], v[142:143], v[192:195]// 0000000061E0: D3F300C0 0F031D36
	buffer_load_dwordx4 a[164:167], v42, s[12:15], 0 offen     // 0000000061E8: E05C1000 8083A42A
	v_mfma_f32_16x16x32_fp8_fp8 v[196:199], a[52:53], v[168:169], v[196:199]// 0000000061F0: D3F300C4 0F135134
	v_mfma_f32_16x16x32_fp8_fp8 v[196:199], a[54:55], v[170:171], v[196:199]// 0000000061F8: D3F300C4 0F135536
	v_mfma_f32_16x16x32_fp8_fp8 v[200:203], a[56:57], v[140:141], v[200:203]// 000000006200: D3F300C8 0F231938
	v_mfma_f32_16x16x32_fp8_fp8 v[200:203], a[58:59], v[142:143], v[200:203]// 000000006208: D3F300C8 0F231D3A
	buffer_load_dwordx4 a[168:171], v43, s[12:15], 0 offen     // 000000006210: E05C1000 8083A82B
	v_mfma_f32_16x16x32_fp8_fp8 v[204:207], a[56:57], v[168:169], v[204:207]// 000000006218: D3F300CC 0F335138
	v_mfma_f32_16x16x32_fp8_fp8 v[204:207], a[58:59], v[170:171], v[204:207]// 000000006220: D3F300CC 0F33553A
	v_mfma_f32_16x16x32_fp8_fp8 v[208:211], a[60:61], v[140:141], v[208:211]// 000000006228: D3F300D0 0F43193C
	v_mfma_f32_16x16x32_fp8_fp8 v[208:211], a[62:63], v[142:143], v[208:211]// 000000006230: D3F300D0 0F431D3E
	buffer_load_dwordx4 a[172:175], v44, s[12:15], 0 offen     // 000000006238: E05C1000 8083AC2C
	s_add_u32 s12, s78, s12                                    // 000000006240: 800C0C4E
	s_addc_u32 s13, 0, s13                                     // 000000006244: 820D0D80
	v_mfma_f32_16x16x32_fp8_fp8 v[212:215], a[60:61], v[168:169], v[212:215]// 000000006248: D3F300D4 0F53513C
	v_mfma_f32_16x16x32_fp8_fp8 v[212:215], a[62:63], v[170:171], v[212:215]// 000000006250: D3F300D4 0F53553E
	s_waitcnt vmcnt(41)                                        // 000000006258: BF8C8F79
	v_mfma_f32_16x16x32_fp8_fp8 v[184:187], a[64:65], v[144:145], v[184:187]// 00000000625C: D3F300B8 0EE32140
	v_mfma_f32_16x16x32_fp8_fp8 v[184:187], a[66:67], v[146:147], v[184:187]// 000000006264: D3F300B8 0EE32542
	buffer_load_dwordx4 a[176:179], v41, s[12:15], 0 offen     // 00000000626C: E05C1000 8083B029
	v_mfma_f32_16x16x32_fp8_fp8 v[188:191], a[64:65], v[172:173], v[188:191]// 000000006274: D3F300BC 0EF35940
	v_mfma_f32_16x16x32_fp8_fp8 v[188:191], a[66:67], v[174:175], v[188:191]// 00000000627C: D3F300BC 0EF35D42
	v_mfma_f32_16x16x32_fp8_fp8 v[192:195], a[68:69], v[144:145], v[192:195]// 000000006284: D3F300C0 0F032144
	v_mfma_f32_16x16x32_fp8_fp8 v[192:195], a[70:71], v[146:147], v[192:195]// 00000000628C: D3F300C0 0F032546
	buffer_load_dwordx4 a[180:183], v42, s[12:15], 0 offen     // 000000006294: E05C1000 8083B42A
	v_mfma_f32_16x16x32_fp8_fp8 v[196:199], a[68:69], v[172:173], v[196:199]// 00000000629C: D3F300C4 0F135944
	v_mfma_f32_16x16x32_fp8_fp8 v[196:199], a[70:71], v[174:175], v[196:199]// 0000000062A4: D3F300C4 0F135D46
	v_mfma_f32_16x16x32_fp8_fp8 v[200:203], a[72:73], v[144:145], v[200:203]// 0000000062AC: D3F300C8 0F232148
	v_mfma_f32_16x16x32_fp8_fp8 v[200:203], a[74:75], v[146:147], v[200:203]// 0000000062B4: D3F300C8 0F23254A
	buffer_load_dwordx4 a[184:187], v43, s[12:15], 0 offen     // 0000000062BC: E05C1000 8083B82B
	v_mfma_f32_16x16x32_fp8_fp8 v[204:207], a[72:73], v[172:173], v[204:207]// 0000000062C4: D3F300CC 0F335948
	v_mfma_f32_16x16x32_fp8_fp8 v[204:207], a[74:75], v[174:175], v[204:207]// 0000000062CC: D3F300CC 0F335D4A
	v_mfma_f32_16x16x32_fp8_fp8 v[208:211], a[76:77], v[144:145], v[208:211]// 0000000062D4: D3F300D0 0F43214C
	v_mfma_f32_16x16x32_fp8_fp8 v[208:211], a[78:79], v[146:147], v[208:211]// 0000000062DC: D3F300D0 0F43254E
	buffer_load_dwordx4 a[188:191], v44, s[12:15], 0 offen     // 0000000062E4: E05C1000 8083BC2C
	s_add_u32 s12, s78, s12                                    // 0000000062EC: 800C0C4E
	s_addc_u32 s13, 0, s13                                     // 0000000062F0: 820D0D80
	v_mfma_f32_16x16x32_fp8_fp8 v[212:215], a[76:77], v[172:173], v[212:215]// 0000000062F4: D3F300D4 0F53594C
	v_mfma_f32_16x16x32_fp8_fp8 v[212:215], a[78:79], v[174:175], v[212:215]// 0000000062FC: D3F300D4 0F535D4E
	s_waitcnt vmcnt(41)                                        // 000000006304: BF8C8F79
	v_mfma_f32_16x16x32_fp8_fp8 v[184:187], a[80:81], v[148:149], v[184:187]// 000000006308: D3F300B8 0EE32950
	v_mfma_f32_16x16x32_fp8_fp8 v[184:187], a[82:83], v[150:151], v[184:187]// 000000006310: D3F300B8 0EE32D52
	buffer_load_dwordx4 a[192:195], v41, s[12:15], 0 offen     // 000000006318: E05C1000 8083C029
	v_mfma_f32_16x16x32_fp8_fp8 v[188:191], a[80:81], v[176:177], v[188:191]// 000000006320: D3F300BC 0EF36150
	v_mfma_f32_16x16x32_fp8_fp8 v[188:191], a[82:83], v[178:179], v[188:191]// 000000006328: D3F300BC 0EF36552
	v_mfma_f32_16x16x32_fp8_fp8 v[192:195], a[84:85], v[148:149], v[192:195]// 000000006330: D3F300C0 0F032954
	v_mfma_f32_16x16x32_fp8_fp8 v[192:195], a[86:87], v[150:151], v[192:195]// 000000006338: D3F300C0 0F032D56
	buffer_load_dwordx4 a[196:199], v42, s[12:15], 0 offen     // 000000006340: E05C1000 8083C42A
	v_mfma_f32_16x16x32_fp8_fp8 v[196:199], a[84:85], v[176:177], v[196:199]// 000000006348: D3F300C4 0F136154
	v_mfma_f32_16x16x32_fp8_fp8 v[196:199], a[86:87], v[178:179], v[196:199]// 000000006350: D3F300C4 0F136556
	v_mfma_f32_16x16x32_fp8_fp8 v[200:203], a[88:89], v[148:149], v[200:203]// 000000006358: D3F300C8 0F232958
	v_mfma_f32_16x16x32_fp8_fp8 v[200:203], a[90:91], v[150:151], v[200:203]// 000000006360: D3F300C8 0F232D5A
	buffer_load_dwordx4 a[200:203], v43, s[12:15], 0 offen     // 000000006368: E05C1000 8083C82B
	v_mfma_f32_16x16x32_fp8_fp8 v[204:207], a[88:89], v[176:177], v[204:207]// 000000006370: D3F300CC 0F336158
	v_mfma_f32_16x16x32_fp8_fp8 v[204:207], a[90:91], v[178:179], v[204:207]// 000000006378: D3F300CC 0F33655A
	v_mfma_f32_16x16x32_fp8_fp8 v[208:211], a[92:93], v[148:149], v[208:211]// 000000006380: D3F300D0 0F43295C
	v_mfma_f32_16x16x32_fp8_fp8 v[208:211], a[94:95], v[150:151], v[208:211]// 000000006388: D3F300D0 0F432D5E
	buffer_load_dwordx4 a[204:207], v44, s[12:15], 0 offen     // 000000006390: E05C1000 8083CC2C
	s_add_u32 s12, s78, s12                                    // 000000006398: 800C0C4E
	s_addc_u32 s13, 0, s13                                     // 00000000639C: 820D0D80
	v_mfma_f32_16x16x32_fp8_fp8 v[212:215], a[92:93], v[176:177], v[212:215]// 0000000063A0: D3F300D4 0F53615C
	v_mfma_f32_16x16x32_fp8_fp8 v[212:215], a[94:95], v[178:179], v[212:215]// 0000000063A8: D3F300D4 0F53655E
	s_waitcnt vmcnt(40)                                        // 0000000063B0: BF8C8F78
	v_mfma_f32_16x16x32_fp8_fp8 v[184:187], a[96:97], v[152:153], v[184:187]// 0000000063B4: D3F300B8 0EE33160
	v_mfma_f32_16x16x32_fp8_fp8 v[184:187], a[98:99], v[154:155], v[184:187]// 0000000063BC: D3F300B8 0EE33562
	buffer_load_dwordx4 a[208:211], v41, s[12:15], 0 offen     // 0000000063C4: E05C1000 8083D029
	v_mfma_f32_16x16x32_fp8_fp8 v[188:191], a[96:97], v[180:181], v[188:191]// 0000000063CC: D3F300BC 0EF36960
	v_mfma_f32_16x16x32_fp8_fp8 v[188:191], a[98:99], v[182:183], v[188:191]// 0000000063D4: D3F300BC 0EF36D62
	buffer_load_dword v13, v5, s[16:19], 0 offen               // 0000000063DC: E0501000 80040D05
	v_mfma_f32_16x16x32_fp8_fp8 v[192:195], a[100:101], v[152:153], v[192:195]// 0000000063E4: D3F300C0 0F033164
	v_mfma_f32_16x16x32_fp8_fp8 v[192:195], a[102:103], v[154:155], v[192:195]// 0000000063EC: D3F300C0 0F033566
	buffer_load_dwordx4 a[212:215], v42, s[12:15], 0 offen     // 0000000063F4: E05C1000 8083D42A
	v_mfma_f32_16x16x32_fp8_fp8 v[196:199], a[100:101], v[180:181], v[196:199]// 0000000063FC: D3F300C4 0F136964
	v_mfma_f32_16x16x32_fp8_fp8 v[196:199], a[102:103], v[182:183], v[196:199]// 000000006404: D3F300C4 0F136D66
	v_mfma_f32_16x16x32_fp8_fp8 v[200:203], a[104:105], v[152:153], v[200:203]// 00000000640C: D3F300C8 0F233168
	v_mfma_f32_16x16x32_fp8_fp8 v[200:203], a[106:107], v[154:155], v[200:203]// 000000006414: D3F300C8 0F23356A
	buffer_load_dwordx4 a[216:219], v43, s[12:15], 0 offen     // 00000000641C: E05C1000 8083D82B
	v_mfma_f32_16x16x32_fp8_fp8 v[204:207], a[104:105], v[180:181], v[204:207]// 000000006424: D3F300CC 0F336968
	v_mfma_f32_16x16x32_fp8_fp8 v[204:207], a[106:107], v[182:183], v[204:207]// 00000000642C: D3F300CC 0F336D6A
	v_mfma_f32_16x16x32_fp8_fp8 v[208:211], a[108:109], v[152:153], v[208:211]// 000000006434: D3F300D0 0F43316C
	v_mfma_f32_16x16x32_fp8_fp8 v[208:211], a[110:111], v[154:155], v[208:211]// 00000000643C: D3F300D0 0F43356E
	buffer_load_dwordx4 a[220:223], v44, s[12:15], 0 offen     // 000000006444: E05C1000 8083DC2C
	v_mfma_f32_16x16x32_fp8_fp8 v[212:215], a[108:109], v[180:181], v[212:215]// 00000000644C: D3F300D4 0F53696C
	v_mfma_f32_16x16x32_fp8_fp8 v[212:215], a[110:111], v[182:183], v[212:215]// 000000006454: D3F300D4 0F536D6E
	s_add_u32 s60, 0x200, s80                                  // 00000000645C: 803C50FF 00000200
	s_cmp_lt_u32 s60, s81                                      // 000000006464: BF0A513C
	s_cselect_b32 s56, s56, 0                                  // 000000006468: 85388038
	s_cselect_b32 s78, s78, 0                                  // 00000000646C: 854E804E
	s_cselect_b32 s79, s79, 0                                  // 000000006470: 854F804F
	s_add_u32 s12, s56, s12                                    // 000000006474: 800C0C38
	s_addc_u32 s13, 0, s13                                     // 000000006478: 820D0D80
	s_add_u32 s16, s79, s16                                    // 00000000647C: 8010104F
	s_addc_u32 s17, 0, s17                                     // 000000006480: 82111180
	v_mul_f32_e32 v184, v24, v184                              // 000000006484: 0B717118
	v_mul_f32_e32 v185, v24, v185                              // 000000006488: 0B737318
	v_mul_f32_e32 v186, v24, v186                              // 00000000648C: 0B757518
	v_mul_f32_e32 v187, v24, v187                              // 000000006490: 0B777718
	v_mul_f32_dpp v184, v12, v184 row_newbcast:0 row_mask:0xf bank_mask:0xf// 000000006494: 0B7170FA FF01500C
	v_mul_f32_dpp v185, v12, v185 row_newbcast:1 row_mask:0xf bank_mask:0xf// 00000000649C: 0B7372FA FF01510C
	v_mul_f32_dpp v186, v12, v186 row_newbcast:2 row_mask:0xf bank_mask:0xf// 0000000064A4: 0B7574FA FF01520C
	v_mul_f32_dpp v187, v12, v187 row_newbcast:3 row_mask:0xf bank_mask:0xf// 0000000064AC: 0B7776FA FF01530C
	v_mul_f32_e32 v184, v20, v184                              // 0000000064B4: 0B717114
	v_mul_f32_e32 v185, v20, v185                              // 0000000064B8: 0B737314
	v_mul_f32_e32 v186, v20, v186                              // 0000000064BC: 0B757514
	v_mul_f32_e32 v187, v20, v187                              // 0000000064C0: 0B777714
	v_mul_f32_e32 v188, v25, v188                              // 0000000064C4: 0B797919
	v_mul_f32_e32 v189, v25, v189                              // 0000000064C8: 0B7B7B19
	v_mul_f32_e32 v190, v25, v190                              // 0000000064CC: 0B7D7D19
	v_mul_f32_e32 v191, v25, v191                              // 0000000064D0: 0B7F7F19
	v_mul_f32_dpp v188, v12, v188 row_newbcast:0 row_mask:0xf bank_mask:0xf// 0000000064D4: 0B7978FA FF01500C
	v_mul_f32_dpp v189, v12, v189 row_newbcast:1 row_mask:0xf bank_mask:0xf// 0000000064DC: 0B7B7AFA FF01510C
	v_mul_f32_dpp v190, v12, v190 row_newbcast:2 row_mask:0xf bank_mask:0xf// 0000000064E4: 0B7D7CFA FF01520C
	v_mul_f32_dpp v191, v12, v191 row_newbcast:3 row_mask:0xf bank_mask:0xf// 0000000064EC: 0B7F7EFA FF01530C
	v_mul_f32_e32 v188, v21, v188                              // 0000000064F4: 0B797915
	v_mul_f32_e32 v189, v21, v189                              // 0000000064F8: 0B7B7B15
	v_mul_f32_e32 v190, v21, v190                              // 0000000064FC: 0B7D7D15
	v_mul_f32_e32 v191, v21, v191                              // 000000006500: 0B7F7F15
	v_mul_f32_e32 v192, v24, v192                              // 000000006504: 0B818118
	v_mul_f32_e32 v193, v24, v193                              // 000000006508: 0B838318
	v_mul_f32_e32 v194, v24, v194                              // 00000000650C: 0B858518
	v_mul_f32_e32 v195, v24, v195                              // 000000006510: 0B878718
	v_mul_f32_dpp v192, v12, v192 row_newbcast:4 row_mask:0xf bank_mask:0xf// 000000006514: 0B8180FA FF01540C
	v_mul_f32_dpp v193, v12, v193 row_newbcast:5 row_mask:0xf bank_mask:0xf// 00000000651C: 0B8382FA FF01550C
	v_mul_f32_dpp v194, v12, v194 row_newbcast:6 row_mask:0xf bank_mask:0xf// 000000006524: 0B8584FA FF01560C
	v_mul_f32_dpp v195, v12, v195 row_newbcast:7 row_mask:0xf bank_mask:0xf// 00000000652C: 0B8786FA FF01570C
	v_mul_f32_e32 v192, v20, v192                              // 000000006534: 0B818114
	v_mul_f32_e32 v193, v20, v193                              // 000000006538: 0B838314
	v_mul_f32_e32 v194, v20, v194                              // 00000000653C: 0B858514
	v_mul_f32_e32 v195, v20, v195                              // 000000006540: 0B878714
	v_mul_f32_e32 v196, v25, v196                              // 000000006544: 0B898919
	v_mul_f32_e32 v197, v25, v197                              // 000000006548: 0B8B8B19
	v_mul_f32_e32 v198, v25, v198                              // 00000000654C: 0B8D8D19
	v_mul_f32_e32 v199, v25, v199                              // 000000006550: 0B8F8F19
	v_mul_f32_dpp v196, v12, v196 row_newbcast:4 row_mask:0xf bank_mask:0xf// 000000006554: 0B8988FA FF01540C
	v_mul_f32_dpp v197, v12, v197 row_newbcast:5 row_mask:0xf bank_mask:0xf// 00000000655C: 0B8B8AFA FF01550C
	v_mul_f32_dpp v198, v12, v198 row_newbcast:6 row_mask:0xf bank_mask:0xf// 000000006564: 0B8D8CFA FF01560C
	v_mul_f32_dpp v199, v12, v199 row_newbcast:7 row_mask:0xf bank_mask:0xf// 00000000656C: 0B8F8EFA FF01570C
	v_mul_f32_e32 v196, v21, v196                              // 000000006574: 0B898915
	v_mul_f32_e32 v197, v21, v197                              // 000000006578: 0B8B8B15
	v_mul_f32_e32 v198, v21, v198                              // 00000000657C: 0B8D8D15
	v_mul_f32_e32 v199, v21, v199                              // 000000006580: 0B8F8F15
	v_mul_f32_e32 v200, v24, v200                              // 000000006584: 0B919118
	v_mul_f32_e32 v201, v24, v201                              // 000000006588: 0B939318
	v_mul_f32_e32 v202, v24, v202                              // 00000000658C: 0B959518
	v_mul_f32_e32 v203, v24, v203                              // 000000006590: 0B979718
	v_mul_f32_dpp v200, v12, v200 row_newbcast:8 row_mask:0xf bank_mask:0xf// 000000006594: 0B9190FA FF01580C
	v_mul_f32_dpp v201, v12, v201 row_newbcast:9 row_mask:0xf bank_mask:0xf// 00000000659C: 0B9392FA FF01590C
	v_mul_f32_dpp v202, v12, v202 row_newbcast:10 row_mask:0xf bank_mask:0xf// 0000000065A4: 0B9594FA FF015A0C
	v_mul_f32_dpp v203, v12, v203 row_newbcast:11 row_mask:0xf bank_mask:0xf// 0000000065AC: 0B9796FA FF015B0C
	v_mul_f32_e32 v200, v20, v200                              // 0000000065B4: 0B919114
	v_mul_f32_e32 v201, v20, v201                              // 0000000065B8: 0B939314
	v_mul_f32_e32 v202, v20, v202                              // 0000000065BC: 0B959514
	v_mul_f32_e32 v203, v20, v203                              // 0000000065C0: 0B979714
	v_mul_f32_e32 v204, v25, v204                              // 0000000065C4: 0B999919
	v_mul_f32_e32 v205, v25, v205                              // 0000000065C8: 0B9B9B19
	v_mul_f32_e32 v206, v25, v206                              // 0000000065CC: 0B9D9D19
	v_mul_f32_e32 v207, v25, v207                              // 0000000065D0: 0B9F9F19
	v_mul_f32_dpp v204, v12, v204 row_newbcast:8 row_mask:0xf bank_mask:0xf// 0000000065D4: 0B9998FA FF01580C
	v_mul_f32_dpp v205, v12, v205 row_newbcast:9 row_mask:0xf bank_mask:0xf// 0000000065DC: 0B9B9AFA FF01590C
	v_mul_f32_dpp v206, v12, v206 row_newbcast:10 row_mask:0xf bank_mask:0xf// 0000000065E4: 0B9D9CFA FF015A0C
	v_mul_f32_dpp v207, v12, v207 row_newbcast:11 row_mask:0xf bank_mask:0xf// 0000000065EC: 0B9F9EFA FF015B0C
	v_mul_f32_e32 v204, v21, v204                              // 0000000065F4: 0B999915
	v_mul_f32_e32 v205, v21, v205                              // 0000000065F8: 0B9B9B15
	v_mul_f32_e32 v206, v21, v206                              // 0000000065FC: 0B9D9D15
	v_mul_f32_e32 v207, v21, v207                              // 000000006600: 0B9F9F15
	v_mul_f32_e32 v208, v24, v208                              // 000000006604: 0BA1A118
	v_mul_f32_e32 v209, v24, v209                              // 000000006608: 0BA3A318
	v_mul_f32_e32 v210, v24, v210                              // 00000000660C: 0BA5A518
	v_mul_f32_e32 v211, v24, v211                              // 000000006610: 0BA7A718
	v_mul_f32_dpp v208, v12, v208 row_newbcast:12 row_mask:0xf bank_mask:0xf// 000000006614: 0BA1A0FA FF015C0C
	v_mul_f32_dpp v209, v12, v209 row_newbcast:13 row_mask:0xf bank_mask:0xf// 00000000661C: 0BA3A2FA FF015D0C
	v_mul_f32_dpp v210, v12, v210 row_newbcast:14 row_mask:0xf bank_mask:0xf// 000000006624: 0BA5A4FA FF015E0C
	v_mul_f32_dpp v211, v12, v211 row_newbcast:15 row_mask:0xf bank_mask:0xf// 00000000662C: 0BA7A6FA FF015F0C
	v_mul_f32_e32 v208, v20, v208                              // 000000006634: 0BA1A114
	v_mul_f32_e32 v209, v20, v209                              // 000000006638: 0BA3A314
	v_mul_f32_e32 v210, v20, v210                              // 00000000663C: 0BA5A514
	v_mul_f32_e32 v211, v20, v211                              // 000000006640: 0BA7A714
	v_mul_f32_e32 v212, v25, v212                              // 000000006644: 0BA9A919
	v_mul_f32_e32 v213, v25, v213                              // 000000006648: 0BABAB19
	v_mul_f32_e32 v214, v25, v214                              // 00000000664C: 0BADAD19
	v_mul_f32_e32 v215, v25, v215                              // 000000006650: 0BAFAF19
	v_mul_f32_dpp v212, v12, v212 row_newbcast:12 row_mask:0xf bank_mask:0xf// 000000006654: 0BA9A8FA FF015C0C
	v_mul_f32_dpp v213, v12, v213 row_newbcast:13 row_mask:0xf bank_mask:0xf// 00000000665C: 0BABAAFA FF015D0C
	v_mul_f32_dpp v214, v12, v214 row_newbcast:14 row_mask:0xf bank_mask:0xf// 000000006664: 0BADACFA FF015E0C
	v_mul_f32_dpp v215, v12, v215 row_newbcast:15 row_mask:0xf bank_mask:0xf// 00000000666C: 0BAFAEFA FF015F0C
	v_mul_f32_e32 v212, v21, v212                              // 000000006674: 0BA9A915
	v_mul_f32_e32 v213, v21, v213                              // 000000006678: 0BABAB15
	v_mul_f32_e32 v214, v21, v214                              // 00000000667C: 0BADAD15
	v_mul_f32_e32 v215, v21, v215                              // 000000006680: 0BAFAF15
	v_cmp_u_f32_e64 s[48:49], v184, v184                       // 000000006684: D0480030 000371B8
	v_add3_u32 v45, v184, v48, 1                               // 00000000668C: D1FF002D 020661B8
	v_cndmask_b32_e64 v52, v45, v47, s[48:49]                  // 000000006694: D1000034 00C25F2D
	v_cmp_u_f32_e64 s[48:49], v185, v185                       // 00000000669C: D0480030 000373B9
	v_add3_u32 v45, v185, v48, 1                               // 0000000066A4: D1FF002D 020661B9
	v_cndmask_b32_e64 v53, v45, v47, s[48:49]                  // 0000000066AC: D1000035 00C25F2D
	v_perm_b32 v184, v53, v52, s52                             // 0000000066B4: D1ED00B8 00D26935
	v_cmp_u_f32_e64 s[48:49], v186, v186                       // 0000000066BC: D0480030 000375BA
	v_add3_u32 v45, v186, v48, 1                               // 0000000066C4: D1FF002D 020661BA
	v_cndmask_b32_e64 v52, v45, v47, s[48:49]                  // 0000000066CC: D1000034 00C25F2D
	v_cmp_u_f32_e64 s[48:49], v187, v187                       // 0000000066D4: D0480030 000377BB
	v_add3_u32 v45, v187, v48, 1                               // 0000000066DC: D1FF002D 020661BB
	v_cndmask_b32_e64 v53, v45, v47, s[48:49]                  // 0000000066E4: D1000035 00C25F2D
	v_perm_b32 v185, v53, v52, s52                             // 0000000066EC: D1ED00B9 00D26935
	v_cmp_u_f32_e64 s[48:49], v188, v188                       // 0000000066F4: D0480030 000379BC
	v_add3_u32 v45, v188, v48, 1                               // 0000000066FC: D1FF002D 020661BC
	v_cndmask_b32_e64 v52, v45, v47, s[48:49]                  // 000000006704: D1000034 00C25F2D
	v_cmp_u_f32_e64 s[48:49], v189, v189                       // 00000000670C: D0480030 00037BBD
	v_add3_u32 v45, v189, v48, 1                               // 000000006714: D1FF002D 020661BD
	v_cndmask_b32_e64 v53, v45, v47, s[48:49]                  // 00000000671C: D1000035 00C25F2D
	v_perm_b32 v186, v53, v52, s52                             // 000000006724: D1ED00BA 00D26935
	v_cmp_u_f32_e64 s[48:49], v190, v190                       // 00000000672C: D0480030 00037DBE
	v_add3_u32 v45, v190, v48, 1                               // 000000006734: D1FF002D 020661BE
	v_cndmask_b32_e64 v52, v45, v47, s[48:49]                  // 00000000673C: D1000034 00C25F2D
	v_cmp_u_f32_e64 s[48:49], v191, v191                       // 000000006744: D0480030 00037FBF
	v_add3_u32 v45, v191, v48, 1                               // 00000000674C: D1FF002D 020661BF
	v_cndmask_b32_e64 v53, v45, v47, s[48:49]                  // 000000006754: D1000035 00C25F2D
	v_perm_b32 v187, v53, v52, s52                             // 00000000675C: D1ED00BB 00D26935
	v_cmp_u_f32_e64 s[48:49], v192, v192                       // 000000006764: D0480030 000381C0
	v_add3_u32 v45, v192, v48, 1                               // 00000000676C: D1FF002D 020661C0
	v_cndmask_b32_e64 v52, v45, v47, s[48:49]                  // 000000006774: D1000034 00C25F2D
	v_cmp_u_f32_e64 s[48:49], v193, v193                       // 00000000677C: D0480030 000383C1
	v_add3_u32 v45, v193, v48, 1                               // 000000006784: D1FF002D 020661C1
	v_cndmask_b32_e64 v53, v45, v47, s[48:49]                  // 00000000678C: D1000035 00C25F2D
	v_perm_b32 v188, v53, v52, s52                             // 000000006794: D1ED00BC 00D26935
	v_cmp_u_f32_e64 s[48:49], v194, v194                       // 00000000679C: D0480030 000385C2
	v_add3_u32 v45, v194, v48, 1                               // 0000000067A4: D1FF002D 020661C2
	v_cndmask_b32_e64 v52, v45, v47, s[48:49]                  // 0000000067AC: D1000034 00C25F2D
	v_cmp_u_f32_e64 s[48:49], v195, v195                       // 0000000067B4: D0480030 000387C3
	v_add3_u32 v45, v195, v48, 1                               // 0000000067BC: D1FF002D 020661C3
	v_cndmask_b32_e64 v53, v45, v47, s[48:49]                  // 0000000067C4: D1000035 00C25F2D
	v_perm_b32 v189, v53, v52, s52                             // 0000000067CC: D1ED00BD 00D26935
	v_cmp_u_f32_e64 s[48:49], v196, v196                       // 0000000067D4: D0480030 000389C4
	v_add3_u32 v45, v196, v48, 1                               // 0000000067DC: D1FF002D 020661C4
	v_cndmask_b32_e64 v52, v45, v47, s[48:49]                  // 0000000067E4: D1000034 00C25F2D
	v_cmp_u_f32_e64 s[48:49], v197, v197                       // 0000000067EC: D0480030 00038BC5
	v_add3_u32 v45, v197, v48, 1                               // 0000000067F4: D1FF002D 020661C5
	v_cndmask_b32_e64 v53, v45, v47, s[48:49]                  // 0000000067FC: D1000035 00C25F2D
	v_perm_b32 v190, v53, v52, s52                             // 000000006804: D1ED00BE 00D26935
	v_cmp_u_f32_e64 s[48:49], v198, v198                       // 00000000680C: D0480030 00038DC6
	v_add3_u32 v45, v198, v48, 1                               // 000000006814: D1FF002D 020661C6
	v_cndmask_b32_e64 v52, v45, v47, s[48:49]                  // 00000000681C: D1000034 00C25F2D
	v_cmp_u_f32_e64 s[48:49], v199, v199                       // 000000006824: D0480030 00038FC7
	v_add3_u32 v45, v199, v48, 1                               // 00000000682C: D1FF002D 020661C7
	v_cndmask_b32_e64 v53, v45, v47, s[48:49]                  // 000000006834: D1000035 00C25F2D
	v_perm_b32 v191, v53, v52, s52                             // 00000000683C: D1ED00BF 00D26935
	v_cmp_u_f32_e64 s[48:49], v200, v200                       // 000000006844: D0480030 000391C8
	v_add3_u32 v45, v200, v48, 1                               // 00000000684C: D1FF002D 020661C8
	v_cndmask_b32_e64 v52, v45, v47, s[48:49]                  // 000000006854: D1000034 00C25F2D
	v_cmp_u_f32_e64 s[48:49], v201, v201                       // 00000000685C: D0480030 000393C9
	v_add3_u32 v45, v201, v48, 1                               // 000000006864: D1FF002D 020661C9
	v_cndmask_b32_e64 v53, v45, v47, s[48:49]                  // 00000000686C: D1000035 00C25F2D
	v_perm_b32 v192, v53, v52, s52                             // 000000006874: D1ED00C0 00D26935
	v_cmp_u_f32_e64 s[48:49], v202, v202                       // 00000000687C: D0480030 000395CA
	v_add3_u32 v45, v202, v48, 1                               // 000000006884: D1FF002D 020661CA
	v_cndmask_b32_e64 v52, v45, v47, s[48:49]                  // 00000000688C: D1000034 00C25F2D
	v_cmp_u_f32_e64 s[48:49], v203, v203                       // 000000006894: D0480030 000397CB
	v_add3_u32 v45, v203, v48, 1                               // 00000000689C: D1FF002D 020661CB
	v_cndmask_b32_e64 v53, v45, v47, s[48:49]                  // 0000000068A4: D1000035 00C25F2D
	v_perm_b32 v193, v53, v52, s52                             // 0000000068AC: D1ED00C1 00D26935
	v_cmp_u_f32_e64 s[48:49], v204, v204                       // 0000000068B4: D0480030 000399CC
	v_add3_u32 v45, v204, v48, 1                               // 0000000068BC: D1FF002D 020661CC
	v_cndmask_b32_e64 v52, v45, v47, s[48:49]                  // 0000000068C4: D1000034 00C25F2D
	v_cmp_u_f32_e64 s[48:49], v205, v205                       // 0000000068CC: D0480030 00039BCD
	v_add3_u32 v45, v205, v48, 1                               // 0000000068D4: D1FF002D 020661CD
	v_cndmask_b32_e64 v53, v45, v47, s[48:49]                  // 0000000068DC: D1000035 00C25F2D
	v_perm_b32 v194, v53, v52, s52                             // 0000000068E4: D1ED00C2 00D26935
	v_cmp_u_f32_e64 s[48:49], v206, v206                       // 0000000068EC: D0480030 00039DCE
	v_add3_u32 v45, v206, v48, 1                               // 0000000068F4: D1FF002D 020661CE
	v_cndmask_b32_e64 v52, v45, v47, s[48:49]                  // 0000000068FC: D1000034 00C25F2D
	v_cmp_u_f32_e64 s[48:49], v207, v207                       // 000000006904: D0480030 00039FCF
	v_add3_u32 v45, v207, v48, 1                               // 00000000690C: D1FF002D 020661CF
	v_cndmask_b32_e64 v53, v45, v47, s[48:49]                  // 000000006914: D1000035 00C25F2D
	v_perm_b32 v195, v53, v52, s52                             // 00000000691C: D1ED00C3 00D26935
	v_cmp_u_f32_e64 s[48:49], v208, v208                       // 000000006924: D0480030 0003A1D0
	v_add3_u32 v45, v208, v48, 1                               // 00000000692C: D1FF002D 020661D0
	v_cndmask_b32_e64 v52, v45, v47, s[48:49]                  // 000000006934: D1000034 00C25F2D
	v_cmp_u_f32_e64 s[48:49], v209, v209                       // 00000000693C: D0480030 0003A3D1
	v_add3_u32 v45, v209, v48, 1                               // 000000006944: D1FF002D 020661D1
	v_cndmask_b32_e64 v53, v45, v47, s[48:49]                  // 00000000694C: D1000035 00C25F2D
	v_perm_b32 v196, v53, v52, s52                             // 000000006954: D1ED00C4 00D26935
	v_cmp_u_f32_e64 s[48:49], v210, v210                       // 00000000695C: D0480030 0003A5D2
	v_add3_u32 v45, v210, v48, 1                               // 000000006964: D1FF002D 020661D2
	v_cndmask_b32_e64 v52, v45, v47, s[48:49]                  // 00000000696C: D1000034 00C25F2D
	v_cmp_u_f32_e64 s[48:49], v211, v211                       // 000000006974: D0480030 0003A7D3
	v_add3_u32 v45, v211, v48, 1                               // 00000000697C: D1FF002D 020661D3
	v_cndmask_b32_e64 v53, v45, v47, s[48:49]                  // 000000006984: D1000035 00C25F2D
	v_perm_b32 v197, v53, v52, s52                             // 00000000698C: D1ED00C5 00D26935
	v_cmp_u_f32_e64 s[48:49], v212, v212                       // 000000006994: D0480030 0003A9D4
	v_add3_u32 v45, v212, v48, 1                               // 00000000699C: D1FF002D 020661D4
	v_cndmask_b32_e64 v52, v45, v47, s[48:49]                  // 0000000069A4: D1000034 00C25F2D
	v_cmp_u_f32_e64 s[48:49], v213, v213                       // 0000000069AC: D0480030 0003ABD5
	v_add3_u32 v45, v213, v48, 1                               // 0000000069B4: D1FF002D 020661D5
	v_cndmask_b32_e64 v53, v45, v47, s[48:49]                  // 0000000069BC: D1000035 00C25F2D
	v_perm_b32 v198, v53, v52, s52                             // 0000000069C4: D1ED00C6 00D26935
	v_cmp_u_f32_e64 s[48:49], v214, v214                       // 0000000069CC: D0480030 0003ADD6
	v_add3_u32 v45, v214, v48, 1                               // 0000000069D4: D1FF002D 020661D6
	v_cndmask_b32_e64 v52, v45, v47, s[48:49]                  // 0000000069DC: D1000034 00C25F2D
	v_cmp_u_f32_e64 s[48:49], v215, v215                       // 0000000069E4: D0480030 0003AFD7
	v_add3_u32 v45, v215, v48, 1                               // 0000000069EC: D1FF002D 020661D7
	v_cndmask_b32_e64 v53, v45, v47, s[48:49]                  // 0000000069F4: D1000035 00C25F2D
	v_perm_b32 v199, v53, v52, s52                             // 0000000069FC: D1ED00C7 00D26935
	ds_write_b64 v3, v[184:185] offset:33024                   // 000000006A04: D89A8100 0000B803
	ds_write_b64 v3, v[186:187] offset:41728                   // 000000006A0C: D89AA300 0000BA03
	ds_write_b64 v3, v[188:189] offset:35200                   // 000000006A14: D89A8980 0000BC03
	ds_write_b64 v3, v[190:191] offset:43904                   // 000000006A1C: D89AAB80 0000BE03
	ds_write_b64 v3, v[192:193] offset:37376                   // 000000006A24: D89A9200 0000C003
	ds_write_b64 v3, v[194:195] offset:46080                   // 000000006A2C: D89AB400 0000C203
	ds_write_b64 v3, v[196:197] offset:39552                   // 000000006A34: D89A9A80 0000C403
	ds_write_b64 v3, v[198:199] offset:48256                   // 000000006A3C: D89ABC80 0000C603
	s_waitcnt lgkmcnt(0)                                       // 000000006A44: BF8CC07F
	s_barrier                                                  // 000000006A48: BF8A0000
	ds_read_b32 v64, v4 offset:33024                           // 000000006A4C: D86C8100 40000004
	ds_read_b32 v65, v4 offset:37376                           // 000000006A54: D86C9200 41000004
	ds_read_b32 v66, v4 offset:33056                           // 000000006A5C: D86C8120 42000004
	ds_read_b32 v67, v4 offset:37408                           // 000000006A64: D86C9220 43000004
	ds_read_b32 v68, v4 offset:33088                           // 000000006A6C: D86C8140 44000004
	ds_read_b32 v69, v4 offset:37440                           // 000000006A74: D86C9240 45000004
	ds_read_b32 v70, v4 offset:33120                           // 000000006A7C: D86C8160 46000004
	ds_read_b32 v71, v4 offset:37472                           // 000000006A84: D86C9260 47000004
	ds_read_b32 v72, v4 offset:41728                           // 000000006A8C: D86CA300 48000004
	ds_read_b32 v73, v4 offset:46080                           // 000000006A94: D86CB400 49000004
	ds_read_b32 v74, v4 offset:41760                           // 000000006A9C: D86CA320 4A000004
	ds_read_b32 v75, v4 offset:46112                           // 000000006AA4: D86CB420 4B000004
	ds_read_b32 v76, v4 offset:41792                           // 000000006AAC: D86CA340 4C000004
	ds_read_b32 v77, v4 offset:46144                           // 000000006AB4: D86CB440 4D000004
	ds_read_b32 v78, v4 offset:41824                           // 000000006ABC: D86CA360 4E000004
	ds_read_b32 v79, v4 offset:46176                           // 000000006AC4: D86CB460 4F000004
	s_waitcnt lgkmcnt(0)                                       // 000000006ACC: BF8CC07F
	s_mov_b64 exec, s[20:21]                                   // 000000006AD0: BEFE0114
	global_atomic_pk_add_bf16 v80, v64, s[8:9]                 // 000000006AD4: DD488000 00084050
	s_mov_b64 exec, s[36:37]                                   // 000000006ADC: BEFE0124
	s_mov_b64 exec, s[20:21]                                   // 000000006AE0: BEFE0114
	global_atomic_pk_add_bf16 v80, v65, s[8:9] offset:256      // 000000006AE4: DD488100 00084150
	s_mov_b64 exec, s[36:37]                                   // 000000006AEC: BEFE0124
	s_mov_b64 exec, s[22:23]                                   // 000000006AF0: BEFE0116
	global_atomic_pk_add_bf16 v82, v66, s[8:9]                 // 000000006AF4: DD488000 00084252
	s_mov_b64 exec, s[36:37]                                   // 000000006AFC: BEFE0124
	s_mov_b64 exec, s[22:23]                                   // 000000006B00: BEFE0116
	global_atomic_pk_add_bf16 v82, v67, s[8:9] offset:256      // 000000006B04: DD488100 00084352
	s_mov_b64 exec, s[36:37]                                   // 000000006B0C: BEFE0124
	s_mov_b64 exec, s[24:25]                                   // 000000006B10: BEFE0118
	global_atomic_pk_add_bf16 v84, v68, s[8:9]                 // 000000006B14: DD488000 00084454
	s_mov_b64 exec, s[36:37]                                   // 000000006B1C: BEFE0124
	s_mov_b64 exec, s[24:25]                                   // 000000006B20: BEFE0118
	global_atomic_pk_add_bf16 v84, v69, s[8:9] offset:256      // 000000006B24: DD488100 00084554
	s_mov_b64 exec, s[36:37]                                   // 000000006B2C: BEFE0124
	s_mov_b64 exec, s[26:27]                                   // 000000006B30: BEFE011A
	global_atomic_pk_add_bf16 v86, v70, s[8:9]                 // 000000006B34: DD488000 00084656
	s_mov_b64 exec, s[36:37]                                   // 000000006B3C: BEFE0124
	s_mov_b64 exec, s[26:27]                                   // 000000006B40: BEFE011A
	global_atomic_pk_add_bf16 v86, v71, s[8:9] offset:256      // 000000006B44: DD488100 00084756
	s_mov_b64 exec, s[36:37]                                   // 000000006B4C: BEFE0124
	s_mov_b64 exec, s[28:29]                                   // 000000006B50: BEFE011C
	global_atomic_pk_add_bf16 v88, v72, s[8:9]                 // 000000006B54: DD488000 00084858
	s_mov_b64 exec, s[36:37]                                   // 000000006B5C: BEFE0124
	s_mov_b64 exec, s[28:29]                                   // 000000006B60: BEFE011C
	global_atomic_pk_add_bf16 v88, v73, s[8:9] offset:256      // 000000006B64: DD488100 00084958
	s_mov_b64 exec, s[36:37]                                   // 000000006B6C: BEFE0124
	s_mov_b64 exec, s[30:31]                                   // 000000006B70: BEFE011E
	global_atomic_pk_add_bf16 v90, v74, s[8:9]                 // 000000006B74: DD488000 00084A5A
	s_mov_b64 exec, s[36:37]                                   // 000000006B7C: BEFE0124
	s_mov_b64 exec, s[30:31]                                   // 000000006B80: BEFE011E
	global_atomic_pk_add_bf16 v90, v75, s[8:9] offset:256      // 000000006B84: DD488100 00084B5A
	s_mov_b64 exec, s[36:37]                                   // 000000006B8C: BEFE0124
	s_mov_b64 exec, s[32:33]                                   // 000000006B90: BEFE0120
	global_atomic_pk_add_bf16 v92, v76, s[8:9]                 // 000000006B94: DD488000 00084C5C
	s_mov_b64 exec, s[36:37]                                   // 000000006B9C: BEFE0124
	s_mov_b64 exec, s[32:33]                                   // 000000006BA0: BEFE0120
	global_atomic_pk_add_bf16 v92, v77, s[8:9] offset:256      // 000000006BA4: DD488100 00084D5C
	s_mov_b64 exec, s[36:37]                                   // 000000006BAC: BEFE0124
	s_mov_b64 exec, s[34:35]                                   // 000000006BB0: BEFE0122
	global_atomic_pk_add_bf16 v94, v78, s[8:9]                 // 000000006BB4: DD488000 00084E5E
	s_mov_b64 exec, s[36:37]                                   // 000000006BBC: BEFE0124
	s_mov_b64 exec, s[34:35]                                   // 000000006BC0: BEFE0122
	global_atomic_pk_add_bf16 v94, v79, s[8:9] offset:256      // 000000006BC4: DD488100 00084F5E
	s_mov_b64 exec, s[36:37]                                   // 000000006BCC: BEFE0124
	s_add_u32 s8, s59, s8                                      // 000000006BD0: 8008083B
	s_addc_u32 s9, 0, s9                                       // 000000006BD4: 82090980
	s_addk_i32 s80, 0x100                                      // 000000006BD8: B7500100
	s_cmp_lt_i32 s80, s81                                      // 000000006BDC: BF045150
	s_cbranch_scc0 label_134A                                  // 000000006BE0: BF840311
	s_waitcnt vmcnt(41)                                        // 000000006BE4: BF8C8F79
	s_barrier                                                  // 000000006BE8: BF8A0000
	v_mfma_f32_16x16x32_fp8_fp8 v[216:219], a[112:113], v[128:129], 0// 000000006BEC: D3F300D8 0A030170
	v_mfma_f32_16x16x32_fp8_fp8 v[216:219], a[114:115], v[130:131], v[216:219]// 000000006BF4: D3F300D8 0F630572
	buffer_load_dwordx4 a[0:3], v41, s[12:15], 0 offen         // 000000006BFC: E05C1000 80830029
	v_mfma_f32_16x16x32_fp8_fp8 v[220:223], a[112:113], v[156:157], 0// 000000006C04: D3F300DC 0A033970
	v_mfma_f32_16x16x32_fp8_fp8 v[220:223], a[114:115], v[158:159], v[220:223]// 000000006C0C: D3F300DC 0F733D72
	v_mfma_f32_16x16x32_fp8_fp8 v[224:227], a[116:117], v[128:129], 0// 000000006C14: D3F300E0 0A030174
	v_mfma_f32_16x16x32_fp8_fp8 v[224:227], a[118:119], v[130:131], v[224:227]// 000000006C1C: D3F300E0 0F830576
	buffer_load_dwordx4 a[4:7], v42, s[12:15], 0 offen         // 000000006C24: E05C1000 8083042A
	v_mfma_f32_16x16x32_fp8_fp8 v[228:231], a[116:117], v[156:157], 0// 000000006C2C: D3F300E4 0A033974
	v_mfma_f32_16x16x32_fp8_fp8 v[228:231], a[118:119], v[158:159], v[228:231]// 000000006C34: D3F300E4 0F933D76
	v_mfma_f32_16x16x32_fp8_fp8 v[232:235], a[120:121], v[128:129], 0// 000000006C3C: D3F300E8 0A030178
	v_mfma_f32_16x16x32_fp8_fp8 v[232:235], a[122:123], v[130:131], v[232:235]// 000000006C44: D3F300E8 0FA3057A
	buffer_load_dwordx4 a[8:11], v43, s[12:15], 0 offen        // 000000006C4C: E05C1000 8083082B
	v_mfma_f32_16x16x32_fp8_fp8 v[236:239], a[120:121], v[156:157], 0// 000000006C54: D3F300EC 0A033978
	v_mfma_f32_16x16x32_fp8_fp8 v[236:239], a[122:123], v[158:159], v[236:239]// 000000006C5C: D3F300EC 0FB33D7A
	v_mfma_f32_16x16x32_fp8_fp8 v[240:243], a[124:125], v[128:129], 0// 000000006C64: D3F300F0 0A03017C
	v_mfma_f32_16x16x32_fp8_fp8 v[240:243], a[126:127], v[130:131], v[240:243]// 000000006C6C: D3F300F0 0FC3057E
	buffer_load_dwordx4 a[12:15], v44, s[12:15], 0 offen       // 000000006C74: E05C1000 80830C2C
	s_add_u32 s12, s78, s12                                    // 000000006C7C: 800C0C4E
	s_addc_u32 s13, 0, s13                                     // 000000006C80: 820D0D80
	v_mfma_f32_16x16x32_fp8_fp8 v[244:247], a[124:125], v[156:157], 0// 000000006C84: D3F300F4 0A03397C
	v_mfma_f32_16x16x32_fp8_fp8 v[244:247], a[126:127], v[158:159], v[244:247]// 000000006C8C: D3F300F4 0FD33D7E
	s_waitcnt vmcnt(41)                                        // 000000006C94: BF8C8F79
	v_mfma_f32_16x16x32_fp8_fp8 v[216:219], a[128:129], v[132:133], v[216:219]// 000000006C98: D3F300D8 0F630980
	v_mfma_f32_16x16x32_fp8_fp8 v[216:219], a[130:131], v[134:135], v[216:219]// 000000006CA0: D3F300D8 0F630D82
	buffer_load_dwordx4 a[16:19], v41, s[12:15], 0 offen       // 000000006CA8: E05C1000 80831029
	v_mfma_f32_16x16x32_fp8_fp8 v[220:223], a[128:129], v[160:161], v[220:223]// 000000006CB0: D3F300DC 0F734180
	v_mfma_f32_16x16x32_fp8_fp8 v[220:223], a[130:131], v[162:163], v[220:223]// 000000006CB8: D3F300DC 0F734582
	v_mfma_f32_16x16x32_fp8_fp8 v[224:227], a[132:133], v[132:133], v[224:227]// 000000006CC0: D3F300E0 0F830984
	v_mfma_f32_16x16x32_fp8_fp8 v[224:227], a[134:135], v[134:135], v[224:227]// 000000006CC8: D3F300E0 0F830D86
	buffer_load_dwordx4 a[20:23], v42, s[12:15], 0 offen       // 000000006CD0: E05C1000 8083142A
	v_mfma_f32_16x16x32_fp8_fp8 v[228:231], a[132:133], v[160:161], v[228:231]// 000000006CD8: D3F300E4 0F934184
	v_mfma_f32_16x16x32_fp8_fp8 v[228:231], a[134:135], v[162:163], v[228:231]// 000000006CE0: D3F300E4 0F934586
	v_mfma_f32_16x16x32_fp8_fp8 v[232:235], a[136:137], v[132:133], v[232:235]// 000000006CE8: D3F300E8 0FA30988
	v_mfma_f32_16x16x32_fp8_fp8 v[232:235], a[138:139], v[134:135], v[232:235]// 000000006CF0: D3F300E8 0FA30D8A
	buffer_load_dwordx4 a[24:27], v43, s[12:15], 0 offen       // 000000006CF8: E05C1000 8083182B
	v_mfma_f32_16x16x32_fp8_fp8 v[236:239], a[136:137], v[160:161], v[236:239]// 000000006D00: D3F300EC 0FB34188
	v_mfma_f32_16x16x32_fp8_fp8 v[236:239], a[138:139], v[162:163], v[236:239]// 000000006D08: D3F300EC 0FB3458A
	v_mfma_f32_16x16x32_fp8_fp8 v[240:243], a[140:141], v[132:133], v[240:243]// 000000006D10: D3F300F0 0FC3098C
	v_mfma_f32_16x16x32_fp8_fp8 v[240:243], a[142:143], v[134:135], v[240:243]// 000000006D18: D3F300F0 0FC30D8E
	buffer_load_dwordx4 a[28:31], v44, s[12:15], 0 offen       // 000000006D20: E05C1000 80831C2C
	s_add_u32 s12, s78, s12                                    // 000000006D28: 800C0C4E
	s_addc_u32 s13, 0, s13                                     // 000000006D2C: 820D0D80
	v_mfma_f32_16x16x32_fp8_fp8 v[244:247], a[140:141], v[160:161], v[244:247]// 000000006D30: D3F300F4 0FD3418C
	v_mfma_f32_16x16x32_fp8_fp8 v[244:247], a[142:143], v[162:163], v[244:247]// 000000006D38: D3F300F4 0FD3458E
	s_waitcnt vmcnt(41)                                        // 000000006D40: BF8C8F79
	v_mfma_f32_16x16x32_fp8_fp8 v[216:219], a[144:145], v[136:137], v[216:219]// 000000006D44: D3F300D8 0F631190
	v_mfma_f32_16x16x32_fp8_fp8 v[216:219], a[146:147], v[138:139], v[216:219]// 000000006D4C: D3F300D8 0F631592
	buffer_load_dwordx4 a[32:35], v41, s[12:15], 0 offen       // 000000006D54: E05C1000 80832029
	v_mfma_f32_16x16x32_fp8_fp8 v[220:223], a[144:145], v[164:165], v[220:223]// 000000006D5C: D3F300DC 0F734990
	v_mfma_f32_16x16x32_fp8_fp8 v[220:223], a[146:147], v[166:167], v[220:223]// 000000006D64: D3F300DC 0F734D92
	v_mfma_f32_16x16x32_fp8_fp8 v[224:227], a[148:149], v[136:137], v[224:227]// 000000006D6C: D3F300E0 0F831194
	v_mfma_f32_16x16x32_fp8_fp8 v[224:227], a[150:151], v[138:139], v[224:227]// 000000006D74: D3F300E0 0F831596
	buffer_load_dwordx4 a[36:39], v42, s[12:15], 0 offen       // 000000006D7C: E05C1000 8083242A
	v_mfma_f32_16x16x32_fp8_fp8 v[228:231], a[148:149], v[164:165], v[228:231]// 000000006D84: D3F300E4 0F934994
	v_mfma_f32_16x16x32_fp8_fp8 v[228:231], a[150:151], v[166:167], v[228:231]// 000000006D8C: D3F300E4 0F934D96
	v_mfma_f32_16x16x32_fp8_fp8 v[232:235], a[152:153], v[136:137], v[232:235]// 000000006D94: D3F300E8 0FA31198
	v_mfma_f32_16x16x32_fp8_fp8 v[232:235], a[154:155], v[138:139], v[232:235]// 000000006D9C: D3F300E8 0FA3159A
	buffer_load_dwordx4 a[40:43], v43, s[12:15], 0 offen       // 000000006DA4: E05C1000 8083282B
	v_mfma_f32_16x16x32_fp8_fp8 v[236:239], a[152:153], v[164:165], v[236:239]// 000000006DAC: D3F300EC 0FB34998
	v_mfma_f32_16x16x32_fp8_fp8 v[236:239], a[154:155], v[166:167], v[236:239]// 000000006DB4: D3F300EC 0FB34D9A
	v_mfma_f32_16x16x32_fp8_fp8 v[240:243], a[156:157], v[136:137], v[240:243]// 000000006DBC: D3F300F0 0FC3119C
	v_mfma_f32_16x16x32_fp8_fp8 v[240:243], a[158:159], v[138:139], v[240:243]// 000000006DC4: D3F300F0 0FC3159E
	buffer_load_dwordx4 a[44:47], v44, s[12:15], 0 offen       // 000000006DCC: E05C1000 80832C2C
	s_add_u32 s12, s78, s12                                    // 000000006DD4: 800C0C4E
	s_addc_u32 s13, 0, s13                                     // 000000006DD8: 820D0D80
	v_mfma_f32_16x16x32_fp8_fp8 v[244:247], a[156:157], v[164:165], v[244:247]// 000000006DDC: D3F300F4 0FD3499C
	v_mfma_f32_16x16x32_fp8_fp8 v[244:247], a[158:159], v[166:167], v[244:247]// 000000006DE4: D3F300F4 0FD34D9E
	s_waitcnt vmcnt(41)                                        // 000000006DEC: BF8C8F79
	v_mfma_f32_16x16x32_fp8_fp8 v[216:219], a[160:161], v[140:141], v[216:219]// 000000006DF0: D3F300D8 0F6319A0
	v_mfma_f32_16x16x32_fp8_fp8 v[216:219], a[162:163], v[142:143], v[216:219]// 000000006DF8: D3F300D8 0F631DA2
	buffer_load_dwordx4 a[48:51], v41, s[12:15], 0 offen       // 000000006E00: E05C1000 80833029
	v_mfma_f32_16x16x32_fp8_fp8 v[220:223], a[160:161], v[168:169], v[220:223]// 000000006E08: D3F300DC 0F7351A0
	v_mfma_f32_16x16x32_fp8_fp8 v[220:223], a[162:163], v[170:171], v[220:223]// 000000006E10: D3F300DC 0F7355A2
	v_mfma_f32_16x16x32_fp8_fp8 v[224:227], a[164:165], v[140:141], v[224:227]// 000000006E18: D3F300E0 0F8319A4
	v_mfma_f32_16x16x32_fp8_fp8 v[224:227], a[166:167], v[142:143], v[224:227]// 000000006E20: D3F300E0 0F831DA6
	buffer_load_dwordx4 a[52:55], v42, s[12:15], 0 offen       // 000000006E28: E05C1000 8083342A
	v_mfma_f32_16x16x32_fp8_fp8 v[228:231], a[164:165], v[168:169], v[228:231]// 000000006E30: D3F300E4 0F9351A4
	v_mfma_f32_16x16x32_fp8_fp8 v[228:231], a[166:167], v[170:171], v[228:231]// 000000006E38: D3F300E4 0F9355A6
	v_mfma_f32_16x16x32_fp8_fp8 v[232:235], a[168:169], v[140:141], v[232:235]// 000000006E40: D3F300E8 0FA319A8
	v_mfma_f32_16x16x32_fp8_fp8 v[232:235], a[170:171], v[142:143], v[232:235]// 000000006E48: D3F300E8 0FA31DAA
	buffer_load_dwordx4 a[56:59], v43, s[12:15], 0 offen       // 000000006E50: E05C1000 8083382B
	v_mfma_f32_16x16x32_fp8_fp8 v[236:239], a[168:169], v[168:169], v[236:239]// 000000006E58: D3F300EC 0FB351A8
	v_mfma_f32_16x16x32_fp8_fp8 v[236:239], a[170:171], v[170:171], v[236:239]// 000000006E60: D3F300EC 0FB355AA
	v_mfma_f32_16x16x32_fp8_fp8 v[240:243], a[172:173], v[140:141], v[240:243]// 000000006E68: D3F300F0 0FC319AC
	v_mfma_f32_16x16x32_fp8_fp8 v[240:243], a[174:175], v[142:143], v[240:243]// 000000006E70: D3F300F0 0FC31DAE
	buffer_load_dwordx4 a[60:63], v44, s[12:15], 0 offen       // 000000006E78: E05C1000 80833C2C
	s_add_u32 s12, s78, s12                                    // 000000006E80: 800C0C4E
	s_addc_u32 s13, 0, s13                                     // 000000006E84: 820D0D80
	v_mfma_f32_16x16x32_fp8_fp8 v[244:247], a[172:173], v[168:169], v[244:247]// 000000006E88: D3F300F4 0FD351AC
	v_mfma_f32_16x16x32_fp8_fp8 v[244:247], a[174:175], v[170:171], v[244:247]// 000000006E90: D3F300F4 0FD355AE
	s_waitcnt vmcnt(41)                                        // 000000006E98: BF8C8F79
	v_mfma_f32_16x16x32_fp8_fp8 v[216:219], a[176:177], v[144:145], v[216:219]// 000000006E9C: D3F300D8 0F6321B0
	v_mfma_f32_16x16x32_fp8_fp8 v[216:219], a[178:179], v[146:147], v[216:219]// 000000006EA4: D3F300D8 0F6325B2
	buffer_load_dwordx4 a[64:67], v41, s[12:15], 0 offen       // 000000006EAC: E05C1000 80834029
	v_mfma_f32_16x16x32_fp8_fp8 v[220:223], a[176:177], v[172:173], v[220:223]// 000000006EB4: D3F300DC 0F7359B0
	v_mfma_f32_16x16x32_fp8_fp8 v[220:223], a[178:179], v[174:175], v[220:223]// 000000006EBC: D3F300DC 0F735DB2
	v_mfma_f32_16x16x32_fp8_fp8 v[224:227], a[180:181], v[144:145], v[224:227]// 000000006EC4: D3F300E0 0F8321B4
	v_mfma_f32_16x16x32_fp8_fp8 v[224:227], a[182:183], v[146:147], v[224:227]// 000000006ECC: D3F300E0 0F8325B6
	buffer_load_dwordx4 a[68:71], v42, s[12:15], 0 offen       // 000000006ED4: E05C1000 8083442A
	v_mfma_f32_16x16x32_fp8_fp8 v[228:231], a[180:181], v[172:173], v[228:231]// 000000006EDC: D3F300E4 0F9359B4
	v_mfma_f32_16x16x32_fp8_fp8 v[228:231], a[182:183], v[174:175], v[228:231]// 000000006EE4: D3F300E4 0F935DB6
	v_mfma_f32_16x16x32_fp8_fp8 v[232:235], a[184:185], v[144:145], v[232:235]// 000000006EEC: D3F300E8 0FA321B8
	v_mfma_f32_16x16x32_fp8_fp8 v[232:235], a[186:187], v[146:147], v[232:235]// 000000006EF4: D3F300E8 0FA325BA
	buffer_load_dwordx4 a[72:75], v43, s[12:15], 0 offen       // 000000006EFC: E05C1000 8083482B
	v_mfma_f32_16x16x32_fp8_fp8 v[236:239], a[184:185], v[172:173], v[236:239]// 000000006F04: D3F300EC 0FB359B8
	v_mfma_f32_16x16x32_fp8_fp8 v[236:239], a[186:187], v[174:175], v[236:239]// 000000006F0C: D3F300EC 0FB35DBA
	v_mfma_f32_16x16x32_fp8_fp8 v[240:243], a[188:189], v[144:145], v[240:243]// 000000006F14: D3F300F0 0FC321BC
	v_mfma_f32_16x16x32_fp8_fp8 v[240:243], a[190:191], v[146:147], v[240:243]// 000000006F1C: D3F300F0 0FC325BE
	buffer_load_dwordx4 a[76:79], v44, s[12:15], 0 offen       // 000000006F24: E05C1000 80834C2C
	s_add_u32 s12, s78, s12                                    // 000000006F2C: 800C0C4E
	s_addc_u32 s13, 0, s13                                     // 000000006F30: 820D0D80
	v_mfma_f32_16x16x32_fp8_fp8 v[244:247], a[188:189], v[172:173], v[244:247]// 000000006F34: D3F300F4 0FD359BC
	v_mfma_f32_16x16x32_fp8_fp8 v[244:247], a[190:191], v[174:175], v[244:247]// 000000006F3C: D3F300F4 0FD35DBE
	s_waitcnt vmcnt(41)                                        // 000000006F44: BF8C8F79
	v_mfma_f32_16x16x32_fp8_fp8 v[216:219], a[192:193], v[148:149], v[216:219]// 000000006F48: D3F300D8 0F6329C0
	v_mfma_f32_16x16x32_fp8_fp8 v[216:219], a[194:195], v[150:151], v[216:219]// 000000006F50: D3F300D8 0F632DC2
	buffer_load_dwordx4 a[80:83], v41, s[12:15], 0 offen       // 000000006F58: E05C1000 80835029
	v_mfma_f32_16x16x32_fp8_fp8 v[220:223], a[192:193], v[176:177], v[220:223]// 000000006F60: D3F300DC 0F7361C0
	v_mfma_f32_16x16x32_fp8_fp8 v[220:223], a[194:195], v[178:179], v[220:223]// 000000006F68: D3F300DC 0F7365C2
	v_mfma_f32_16x16x32_fp8_fp8 v[224:227], a[196:197], v[148:149], v[224:227]// 000000006F70: D3F300E0 0F8329C4
	v_mfma_f32_16x16x32_fp8_fp8 v[224:227], a[198:199], v[150:151], v[224:227]// 000000006F78: D3F300E0 0F832DC6
	buffer_load_dwordx4 a[84:87], v42, s[12:15], 0 offen       // 000000006F80: E05C1000 8083542A
	v_mfma_f32_16x16x32_fp8_fp8 v[228:231], a[196:197], v[176:177], v[228:231]// 000000006F88: D3F300E4 0F9361C4
	v_mfma_f32_16x16x32_fp8_fp8 v[228:231], a[198:199], v[178:179], v[228:231]// 000000006F90: D3F300E4 0F9365C6
	v_mfma_f32_16x16x32_fp8_fp8 v[232:235], a[200:201], v[148:149], v[232:235]// 000000006F98: D3F300E8 0FA329C8
	v_mfma_f32_16x16x32_fp8_fp8 v[232:235], a[202:203], v[150:151], v[232:235]// 000000006FA0: D3F300E8 0FA32DCA
	buffer_load_dwordx4 a[88:91], v43, s[12:15], 0 offen       // 000000006FA8: E05C1000 8083582B
	v_mfma_f32_16x16x32_fp8_fp8 v[236:239], a[200:201], v[176:177], v[236:239]// 000000006FB0: D3F300EC 0FB361C8
	v_mfma_f32_16x16x32_fp8_fp8 v[236:239], a[202:203], v[178:179], v[236:239]// 000000006FB8: D3F300EC 0FB365CA
	v_mfma_f32_16x16x32_fp8_fp8 v[240:243], a[204:205], v[148:149], v[240:243]// 000000006FC0: D3F300F0 0FC329CC
	v_mfma_f32_16x16x32_fp8_fp8 v[240:243], a[206:207], v[150:151], v[240:243]// 000000006FC8: D3F300F0 0FC32DCE
	buffer_load_dwordx4 a[92:95], v44, s[12:15], 0 offen       // 000000006FD0: E05C1000 80835C2C
	s_add_u32 s12, s78, s12                                    // 000000006FD8: 800C0C4E
	s_addc_u32 s13, 0, s13                                     // 000000006FDC: 820D0D80
	v_mfma_f32_16x16x32_fp8_fp8 v[244:247], a[204:205], v[176:177], v[244:247]// 000000006FE0: D3F300F4 0FD361CC
	v_mfma_f32_16x16x32_fp8_fp8 v[244:247], a[206:207], v[178:179], v[244:247]// 000000006FE8: D3F300F4 0FD365CE
	s_waitcnt vmcnt(40)                                        // 000000006FF0: BF8C8F78
	v_mfma_f32_16x16x32_fp8_fp8 v[216:219], a[208:209], v[152:153], v[216:219]// 000000006FF4: D3F300D8 0F6331D0
	v_mfma_f32_16x16x32_fp8_fp8 v[216:219], a[210:211], v[154:155], v[216:219]// 000000006FFC: D3F300D8 0F6335D2
	buffer_load_dwordx4 a[96:99], v41, s[12:15], 0 offen       // 000000007004: E05C1000 80836029
	v_mfma_f32_16x16x32_fp8_fp8 v[220:223], a[208:209], v[180:181], v[220:223]// 00000000700C: D3F300DC 0F7369D0
	v_mfma_f32_16x16x32_fp8_fp8 v[220:223], a[210:211], v[182:183], v[220:223]// 000000007014: D3F300DC 0F736DD2
	buffer_load_dword v12, v5, s[16:19], 0 offen               // 00000000701C: E0501000 80040C05
	v_mfma_f32_16x16x32_fp8_fp8 v[224:227], a[212:213], v[152:153], v[224:227]// 000000007024: D3F300E0 0F8331D4
	v_mfma_f32_16x16x32_fp8_fp8 v[224:227], a[214:215], v[154:155], v[224:227]// 00000000702C: D3F300E0 0F8335D6
	buffer_load_dwordx4 a[100:103], v42, s[12:15], 0 offen     // 000000007034: E05C1000 8083642A
	v_mfma_f32_16x16x32_fp8_fp8 v[228:231], a[212:213], v[180:181], v[228:231]// 00000000703C: D3F300E4 0F9369D4
	v_mfma_f32_16x16x32_fp8_fp8 v[228:231], a[214:215], v[182:183], v[228:231]// 000000007044: D3F300E4 0F936DD6
	v_mfma_f32_16x16x32_fp8_fp8 v[232:235], a[216:217], v[152:153], v[232:235]// 00000000704C: D3F300E8 0FA331D8
	v_mfma_f32_16x16x32_fp8_fp8 v[232:235], a[218:219], v[154:155], v[232:235]// 000000007054: D3F300E8 0FA335DA
	buffer_load_dwordx4 a[104:107], v43, s[12:15], 0 offen     // 00000000705C: E05C1000 8083682B
	v_mfma_f32_16x16x32_fp8_fp8 v[236:239], a[216:217], v[180:181], v[236:239]// 000000007064: D3F300EC 0FB369D8
	v_mfma_f32_16x16x32_fp8_fp8 v[236:239], a[218:219], v[182:183], v[236:239]// 00000000706C: D3F300EC 0FB36DDA
	v_mfma_f32_16x16x32_fp8_fp8 v[240:243], a[220:221], v[152:153], v[240:243]// 000000007074: D3F300F0 0FC331DC
	v_mfma_f32_16x16x32_fp8_fp8 v[240:243], a[222:223], v[154:155], v[240:243]// 00000000707C: D3F300F0 0FC335DE
	buffer_load_dwordx4 a[108:111], v44, s[12:15], 0 offen     // 000000007084: E05C1000 80836C2C
	v_mfma_f32_16x16x32_fp8_fp8 v[244:247], a[220:221], v[180:181], v[244:247]// 00000000708C: D3F300F4 0FD369DC
	v_mfma_f32_16x16x32_fp8_fp8 v[244:247], a[222:223], v[182:183], v[244:247]// 000000007094: D3F300F4 0FD36DDE
	s_add_u32 s60, 0x200, s80                                  // 00000000709C: 803C50FF 00000200
	s_cmp_lt_u32 s60, s81                                      // 0000000070A4: BF0A513C
	s_cselect_b32 s56, s56, 0                                  // 0000000070A8: 85388038
	s_cselect_b32 s78, s78, 0                                  // 0000000070AC: 854E804E
	s_cselect_b32 s79, s79, 0                                  // 0000000070B0: 854F804F
	s_add_u32 s12, s56, s12                                    // 0000000070B4: 800C0C38
	s_addc_u32 s13, 0, s13                                     // 0000000070B8: 820D0D80
	s_add_u32 s16, s79, s16                                    // 0000000070BC: 8010104F
	s_addc_u32 s17, 0, s17                                     // 0000000070C0: 82111180
	v_mul_f32_e32 v216, v24, v216                              // 0000000070C4: 0BB1B118
	v_mul_f32_e32 v217, v24, v217                              // 0000000070C8: 0BB3B318
	v_mul_f32_e32 v218, v24, v218                              // 0000000070CC: 0BB5B518
	v_mul_f32_e32 v219, v24, v219                              // 0000000070D0: 0BB7B718
	v_mul_f32_dpp v216, v13, v216 row_newbcast:0 row_mask:0xf bank_mask:0xf// 0000000070D4: 0BB1B0FA FF01500D
	v_mul_f32_dpp v217, v13, v217 row_newbcast:1 row_mask:0xf bank_mask:0xf// 0000000070DC: 0BB3B2FA FF01510D
	v_mul_f32_dpp v218, v13, v218 row_newbcast:2 row_mask:0xf bank_mask:0xf// 0000000070E4: 0BB5B4FA FF01520D
	v_mul_f32_dpp v219, v13, v219 row_newbcast:3 row_mask:0xf bank_mask:0xf// 0000000070EC: 0BB7B6FA FF01530D
	v_mul_f32_e32 v216, v20, v216                              // 0000000070F4: 0BB1B114
	v_mul_f32_e32 v217, v20, v217                              // 0000000070F8: 0BB3B314
	v_mul_f32_e32 v218, v20, v218                              // 0000000070FC: 0BB5B514
	v_mul_f32_e32 v219, v20, v219                              // 000000007100: 0BB7B714
	v_mul_f32_e32 v220, v25, v220                              // 000000007104: 0BB9B919
	v_mul_f32_e32 v221, v25, v221                              // 000000007108: 0BBBBB19
	v_mul_f32_e32 v222, v25, v222                              // 00000000710C: 0BBDBD19
	v_mul_f32_e32 v223, v25, v223                              // 000000007110: 0BBFBF19
	v_mul_f32_dpp v220, v13, v220 row_newbcast:0 row_mask:0xf bank_mask:0xf// 000000007114: 0BB9B8FA FF01500D
	v_mul_f32_dpp v221, v13, v221 row_newbcast:1 row_mask:0xf bank_mask:0xf// 00000000711C: 0BBBBAFA FF01510D
	v_mul_f32_dpp v222, v13, v222 row_newbcast:2 row_mask:0xf bank_mask:0xf// 000000007124: 0BBDBCFA FF01520D
	v_mul_f32_dpp v223, v13, v223 row_newbcast:3 row_mask:0xf bank_mask:0xf// 00000000712C: 0BBFBEFA FF01530D
	v_mul_f32_e32 v220, v21, v220                              // 000000007134: 0BB9B915
	v_mul_f32_e32 v221, v21, v221                              // 000000007138: 0BBBBB15
	v_mul_f32_e32 v222, v21, v222                              // 00000000713C: 0BBDBD15
	v_mul_f32_e32 v223, v21, v223                              // 000000007140: 0BBFBF15
	v_mul_f32_e32 v224, v24, v224                              // 000000007144: 0BC1C118
	v_mul_f32_e32 v225, v24, v225                              // 000000007148: 0BC3C318
	v_mul_f32_e32 v226, v24, v226                              // 00000000714C: 0BC5C518
	v_mul_f32_e32 v227, v24, v227                              // 000000007150: 0BC7C718
	v_mul_f32_dpp v224, v13, v224 row_newbcast:4 row_mask:0xf bank_mask:0xf// 000000007154: 0BC1C0FA FF01540D
	v_mul_f32_dpp v225, v13, v225 row_newbcast:5 row_mask:0xf bank_mask:0xf// 00000000715C: 0BC3C2FA FF01550D
	v_mul_f32_dpp v226, v13, v226 row_newbcast:6 row_mask:0xf bank_mask:0xf// 000000007164: 0BC5C4FA FF01560D
	v_mul_f32_dpp v227, v13, v227 row_newbcast:7 row_mask:0xf bank_mask:0xf// 00000000716C: 0BC7C6FA FF01570D
	v_mul_f32_e32 v224, v20, v224                              // 000000007174: 0BC1C114
	v_mul_f32_e32 v225, v20, v225                              // 000000007178: 0BC3C314
	v_mul_f32_e32 v226, v20, v226                              // 00000000717C: 0BC5C514
	v_mul_f32_e32 v227, v20, v227                              // 000000007180: 0BC7C714
	v_mul_f32_e32 v228, v25, v228                              // 000000007184: 0BC9C919
	v_mul_f32_e32 v229, v25, v229                              // 000000007188: 0BCBCB19
	v_mul_f32_e32 v230, v25, v230                              // 00000000718C: 0BCDCD19
	v_mul_f32_e32 v231, v25, v231                              // 000000007190: 0BCFCF19
	v_mul_f32_dpp v228, v13, v228 row_newbcast:4 row_mask:0xf bank_mask:0xf// 000000007194: 0BC9C8FA FF01540D
	v_mul_f32_dpp v229, v13, v229 row_newbcast:5 row_mask:0xf bank_mask:0xf// 00000000719C: 0BCBCAFA FF01550D
	v_mul_f32_dpp v230, v13, v230 row_newbcast:6 row_mask:0xf bank_mask:0xf// 0000000071A4: 0BCDCCFA FF01560D
	v_mul_f32_dpp v231, v13, v231 row_newbcast:7 row_mask:0xf bank_mask:0xf// 0000000071AC: 0BCFCEFA FF01570D
	v_mul_f32_e32 v228, v21, v228                              // 0000000071B4: 0BC9C915
	v_mul_f32_e32 v229, v21, v229                              // 0000000071B8: 0BCBCB15
	v_mul_f32_e32 v230, v21, v230                              // 0000000071BC: 0BCDCD15
	v_mul_f32_e32 v231, v21, v231                              // 0000000071C0: 0BCFCF15
	v_mul_f32_e32 v232, v24, v232                              // 0000000071C4: 0BD1D118
	v_mul_f32_e32 v233, v24, v233                              // 0000000071C8: 0BD3D318
	v_mul_f32_e32 v234, v24, v234                              // 0000000071CC: 0BD5D518
	v_mul_f32_e32 v235, v24, v235                              // 0000000071D0: 0BD7D718
	v_mul_f32_dpp v232, v13, v232 row_newbcast:8 row_mask:0xf bank_mask:0xf// 0000000071D4: 0BD1D0FA FF01580D
	v_mul_f32_dpp v233, v13, v233 row_newbcast:9 row_mask:0xf bank_mask:0xf// 0000000071DC: 0BD3D2FA FF01590D
	v_mul_f32_dpp v234, v13, v234 row_newbcast:10 row_mask:0xf bank_mask:0xf// 0000000071E4: 0BD5D4FA FF015A0D
	v_mul_f32_dpp v235, v13, v235 row_newbcast:11 row_mask:0xf bank_mask:0xf// 0000000071EC: 0BD7D6FA FF015B0D
	v_mul_f32_e32 v232, v20, v232                              // 0000000071F4: 0BD1D114
	v_mul_f32_e32 v233, v20, v233                              // 0000000071F8: 0BD3D314
	v_mul_f32_e32 v234, v20, v234                              // 0000000071FC: 0BD5D514
	v_mul_f32_e32 v235, v20, v235                              // 000000007200: 0BD7D714
	v_mul_f32_e32 v236, v25, v236                              // 000000007204: 0BD9D919
	v_mul_f32_e32 v237, v25, v237                              // 000000007208: 0BDBDB19
	v_mul_f32_e32 v238, v25, v238                              // 00000000720C: 0BDDDD19
	v_mul_f32_e32 v239, v25, v239                              // 000000007210: 0BDFDF19
	v_mul_f32_dpp v236, v13, v236 row_newbcast:8 row_mask:0xf bank_mask:0xf// 000000007214: 0BD9D8FA FF01580D
	v_mul_f32_dpp v237, v13, v237 row_newbcast:9 row_mask:0xf bank_mask:0xf// 00000000721C: 0BDBDAFA FF01590D
	v_mul_f32_dpp v238, v13, v238 row_newbcast:10 row_mask:0xf bank_mask:0xf// 000000007224: 0BDDDCFA FF015A0D
	v_mul_f32_dpp v239, v13, v239 row_newbcast:11 row_mask:0xf bank_mask:0xf// 00000000722C: 0BDFDEFA FF015B0D
	v_mul_f32_e32 v236, v21, v236                              // 000000007234: 0BD9D915
	v_mul_f32_e32 v237, v21, v237                              // 000000007238: 0BDBDB15
	v_mul_f32_e32 v238, v21, v238                              // 00000000723C: 0BDDDD15
	v_mul_f32_e32 v239, v21, v239                              // 000000007240: 0BDFDF15
	v_mul_f32_e32 v240, v24, v240                              // 000000007244: 0BE1E118
	v_mul_f32_e32 v241, v24, v241                              // 000000007248: 0BE3E318
	v_mul_f32_e32 v242, v24, v242                              // 00000000724C: 0BE5E518
	v_mul_f32_e32 v243, v24, v243                              // 000000007250: 0BE7E718
	v_mul_f32_dpp v240, v13, v240 row_newbcast:12 row_mask:0xf bank_mask:0xf// 000000007254: 0BE1E0FA FF015C0D
	v_mul_f32_dpp v241, v13, v241 row_newbcast:13 row_mask:0xf bank_mask:0xf// 00000000725C: 0BE3E2FA FF015D0D
	v_mul_f32_dpp v242, v13, v242 row_newbcast:14 row_mask:0xf bank_mask:0xf// 000000007264: 0BE5E4FA FF015E0D
	v_mul_f32_dpp v243, v13, v243 row_newbcast:15 row_mask:0xf bank_mask:0xf// 00000000726C: 0BE7E6FA FF015F0D
	v_mul_f32_e32 v240, v20, v240                              // 000000007274: 0BE1E114
	v_mul_f32_e32 v241, v20, v241                              // 000000007278: 0BE3E314
	v_mul_f32_e32 v242, v20, v242                              // 00000000727C: 0BE5E514
	v_mul_f32_e32 v243, v20, v243                              // 000000007280: 0BE7E714
	v_mul_f32_e32 v244, v25, v244                              // 000000007284: 0BE9E919
	v_mul_f32_e32 v245, v25, v245                              // 000000007288: 0BEBEB19
	v_mul_f32_e32 v246, v25, v246                              // 00000000728C: 0BEDED19
	v_mul_f32_e32 v247, v25, v247                              // 000000007290: 0BEFEF19
	v_mul_f32_dpp v244, v13, v244 row_newbcast:12 row_mask:0xf bank_mask:0xf// 000000007294: 0BE9E8FA FF015C0D
	v_mul_f32_dpp v245, v13, v245 row_newbcast:13 row_mask:0xf bank_mask:0xf// 00000000729C: 0BEBEAFA FF015D0D
	v_mul_f32_dpp v246, v13, v246 row_newbcast:14 row_mask:0xf bank_mask:0xf// 0000000072A4: 0BEDECFA FF015E0D
	v_mul_f32_dpp v247, v13, v247 row_newbcast:15 row_mask:0xf bank_mask:0xf// 0000000072AC: 0BEFEEFA FF015F0D
	v_mul_f32_e32 v244, v21, v244                              // 0000000072B4: 0BE9E915
	v_mul_f32_e32 v245, v21, v245                              // 0000000072B8: 0BEBEB15
	v_mul_f32_e32 v246, v21, v246                              // 0000000072BC: 0BEDED15
	v_mul_f32_e32 v247, v21, v247                              // 0000000072C0: 0BEFEF15
	v_cmp_u_f32_e64 s[48:49], v216, v216                       // 0000000072C4: D0480030 0003B1D8
	v_add3_u32 v45, v216, v48, 1                               // 0000000072CC: D1FF002D 020661D8
	v_cndmask_b32_e64 v52, v45, v47, s[48:49]                  // 0000000072D4: D1000034 00C25F2D
	v_cmp_u_f32_e64 s[48:49], v217, v217                       // 0000000072DC: D0480030 0003B3D9
	v_add3_u32 v45, v217, v48, 1                               // 0000000072E4: D1FF002D 020661D9
	v_cndmask_b32_e64 v53, v45, v47, s[48:49]                  // 0000000072EC: D1000035 00C25F2D
	v_perm_b32 v216, v53, v52, s52                             // 0000000072F4: D1ED00D8 00D26935
	v_cmp_u_f32_e64 s[48:49], v218, v218                       // 0000000072FC: D0480030 0003B5DA
	v_add3_u32 v45, v218, v48, 1                               // 000000007304: D1FF002D 020661DA
	v_cndmask_b32_e64 v52, v45, v47, s[48:49]                  // 00000000730C: D1000034 00C25F2D
	v_cmp_u_f32_e64 s[48:49], v219, v219                       // 000000007314: D0480030 0003B7DB
	v_add3_u32 v45, v219, v48, 1                               // 00000000731C: D1FF002D 020661DB
	v_cndmask_b32_e64 v53, v45, v47, s[48:49]                  // 000000007324: D1000035 00C25F2D
	v_perm_b32 v217, v53, v52, s52                             // 00000000732C: D1ED00D9 00D26935
	v_cmp_u_f32_e64 s[48:49], v220, v220                       // 000000007334: D0480030 0003B9DC
	v_add3_u32 v45, v220, v48, 1                               // 00000000733C: D1FF002D 020661DC
	v_cndmask_b32_e64 v52, v45, v47, s[48:49]                  // 000000007344: D1000034 00C25F2D
	v_cmp_u_f32_e64 s[48:49], v221, v221                       // 00000000734C: D0480030 0003BBDD
	v_add3_u32 v45, v221, v48, 1                               // 000000007354: D1FF002D 020661DD
	v_cndmask_b32_e64 v53, v45, v47, s[48:49]                  // 00000000735C: D1000035 00C25F2D
	v_perm_b32 v218, v53, v52, s52                             // 000000007364: D1ED00DA 00D26935
	v_cmp_u_f32_e64 s[48:49], v222, v222                       // 00000000736C: D0480030 0003BDDE
	v_add3_u32 v45, v222, v48, 1                               // 000000007374: D1FF002D 020661DE
	v_cndmask_b32_e64 v52, v45, v47, s[48:49]                  // 00000000737C: D1000034 00C25F2D
	v_cmp_u_f32_e64 s[48:49], v223, v223                       // 000000007384: D0480030 0003BFDF
	v_add3_u32 v45, v223, v48, 1                               // 00000000738C: D1FF002D 020661DF
	v_cndmask_b32_e64 v53, v45, v47, s[48:49]                  // 000000007394: D1000035 00C25F2D
	v_perm_b32 v219, v53, v52, s52                             // 00000000739C: D1ED00DB 00D26935
	v_cmp_u_f32_e64 s[48:49], v224, v224                       // 0000000073A4: D0480030 0003C1E0
	v_add3_u32 v45, v224, v48, 1                               // 0000000073AC: D1FF002D 020661E0
	v_cndmask_b32_e64 v52, v45, v47, s[48:49]                  // 0000000073B4: D1000034 00C25F2D
	v_cmp_u_f32_e64 s[48:49], v225, v225                       // 0000000073BC: D0480030 0003C3E1
	v_add3_u32 v45, v225, v48, 1                               // 0000000073C4: D1FF002D 020661E1
	v_cndmask_b32_e64 v53, v45, v47, s[48:49]                  // 0000000073CC: D1000035 00C25F2D
	v_perm_b32 v220, v53, v52, s52                             // 0000000073D4: D1ED00DC 00D26935
	v_cmp_u_f32_e64 s[48:49], v226, v226                       // 0000000073DC: D0480030 0003C5E2
	v_add3_u32 v45, v226, v48, 1                               // 0000000073E4: D1FF002D 020661E2
	v_cndmask_b32_e64 v52, v45, v47, s[48:49]                  // 0000000073EC: D1000034 00C25F2D
	v_cmp_u_f32_e64 s[48:49], v227, v227                       // 0000000073F4: D0480030 0003C7E3
	v_add3_u32 v45, v227, v48, 1                               // 0000000073FC: D1FF002D 020661E3
	v_cndmask_b32_e64 v53, v45, v47, s[48:49]                  // 000000007404: D1000035 00C25F2D
	v_perm_b32 v221, v53, v52, s52                             // 00000000740C: D1ED00DD 00D26935
	v_cmp_u_f32_e64 s[48:49], v228, v228                       // 000000007414: D0480030 0003C9E4
	v_add3_u32 v45, v228, v48, 1                               // 00000000741C: D1FF002D 020661E4
	v_cndmask_b32_e64 v52, v45, v47, s[48:49]                  // 000000007424: D1000034 00C25F2D
	v_cmp_u_f32_e64 s[48:49], v229, v229                       // 00000000742C: D0480030 0003CBE5
	v_add3_u32 v45, v229, v48, 1                               // 000000007434: D1FF002D 020661E5
	v_cndmask_b32_e64 v53, v45, v47, s[48:49]                  // 00000000743C: D1000035 00C25F2D
	v_perm_b32 v222, v53, v52, s52                             // 000000007444: D1ED00DE 00D26935
	v_cmp_u_f32_e64 s[48:49], v230, v230                       // 00000000744C: D0480030 0003CDE6
	v_add3_u32 v45, v230, v48, 1                               // 000000007454: D1FF002D 020661E6
	v_cndmask_b32_e64 v52, v45, v47, s[48:49]                  // 00000000745C: D1000034 00C25F2D
	v_cmp_u_f32_e64 s[48:49], v231, v231                       // 000000007464: D0480030 0003CFE7
	v_add3_u32 v45, v231, v48, 1                               // 00000000746C: D1FF002D 020661E7
	v_cndmask_b32_e64 v53, v45, v47, s[48:49]                  // 000000007474: D1000035 00C25F2D
	v_perm_b32 v223, v53, v52, s52                             // 00000000747C: D1ED00DF 00D26935
	v_cmp_u_f32_e64 s[48:49], v232, v232                       // 000000007484: D0480030 0003D1E8
	v_add3_u32 v45, v232, v48, 1                               // 00000000748C: D1FF002D 020661E8
	v_cndmask_b32_e64 v52, v45, v47, s[48:49]                  // 000000007494: D1000034 00C25F2D
	v_cmp_u_f32_e64 s[48:49], v233, v233                       // 00000000749C: D0480030 0003D3E9
	v_add3_u32 v45, v233, v48, 1                               // 0000000074A4: D1FF002D 020661E9
	v_cndmask_b32_e64 v53, v45, v47, s[48:49]                  // 0000000074AC: D1000035 00C25F2D
	v_perm_b32 v224, v53, v52, s52                             // 0000000074B4: D1ED00E0 00D26935
	v_cmp_u_f32_e64 s[48:49], v234, v234                       // 0000000074BC: D0480030 0003D5EA
	v_add3_u32 v45, v234, v48, 1                               // 0000000074C4: D1FF002D 020661EA
	v_cndmask_b32_e64 v52, v45, v47, s[48:49]                  // 0000000074CC: D1000034 00C25F2D
	v_cmp_u_f32_e64 s[48:49], v235, v235                       // 0000000074D4: D0480030 0003D7EB
	v_add3_u32 v45, v235, v48, 1                               // 0000000074DC: D1FF002D 020661EB
	v_cndmask_b32_e64 v53, v45, v47, s[48:49]                  // 0000000074E4: D1000035 00C25F2D
	v_perm_b32 v225, v53, v52, s52                             // 0000000074EC: D1ED00E1 00D26935
	v_cmp_u_f32_e64 s[48:49], v236, v236                       // 0000000074F4: D0480030 0003D9EC
	v_add3_u32 v45, v236, v48, 1                               // 0000000074FC: D1FF002D 020661EC
	v_cndmask_b32_e64 v52, v45, v47, s[48:49]                  // 000000007504: D1000034 00C25F2D
	v_cmp_u_f32_e64 s[48:49], v237, v237                       // 00000000750C: D0480030 0003DBED
	v_add3_u32 v45, v237, v48, 1                               // 000000007514: D1FF002D 020661ED
	v_cndmask_b32_e64 v53, v45, v47, s[48:49]                  // 00000000751C: D1000035 00C25F2D
	v_perm_b32 v226, v53, v52, s52                             // 000000007524: D1ED00E2 00D26935
	v_cmp_u_f32_e64 s[48:49], v238, v238                       // 00000000752C: D0480030 0003DDEE
	v_add3_u32 v45, v238, v48, 1                               // 000000007534: D1FF002D 020661EE
	v_cndmask_b32_e64 v52, v45, v47, s[48:49]                  // 00000000753C: D1000034 00C25F2D
	v_cmp_u_f32_e64 s[48:49], v239, v239                       // 000000007544: D0480030 0003DFEF
	v_add3_u32 v45, v239, v48, 1                               // 00000000754C: D1FF002D 020661EF
	v_cndmask_b32_e64 v53, v45, v47, s[48:49]                  // 000000007554: D1000035 00C25F2D
	v_perm_b32 v227, v53, v52, s52                             // 00000000755C: D1ED00E3 00D26935
	v_cmp_u_f32_e64 s[48:49], v240, v240                       // 000000007564: D0480030 0003E1F0
	v_add3_u32 v45, v240, v48, 1                               // 00000000756C: D1FF002D 020661F0
	v_cndmask_b32_e64 v52, v45, v47, s[48:49]                  // 000000007574: D1000034 00C25F2D
	v_cmp_u_f32_e64 s[48:49], v241, v241                       // 00000000757C: D0480030 0003E3F1
	v_add3_u32 v45, v241, v48, 1                               // 000000007584: D1FF002D 020661F1
	v_cndmask_b32_e64 v53, v45, v47, s[48:49]                  // 00000000758C: D1000035 00C25F2D
	v_perm_b32 v228, v53, v52, s52                             // 000000007594: D1ED00E4 00D26935
	v_cmp_u_f32_e64 s[48:49], v242, v242                       // 00000000759C: D0480030 0003E5F2
	v_add3_u32 v45, v242, v48, 1                               // 0000000075A4: D1FF002D 020661F2
	v_cndmask_b32_e64 v52, v45, v47, s[48:49]                  // 0000000075AC: D1000034 00C25F2D
	v_cmp_u_f32_e64 s[48:49], v243, v243                       // 0000000075B4: D0480030 0003E7F3
	v_add3_u32 v45, v243, v48, 1                               // 0000000075BC: D1FF002D 020661F3
	v_cndmask_b32_e64 v53, v45, v47, s[48:49]                  // 0000000075C4: D1000035 00C25F2D
	v_perm_b32 v229, v53, v52, s52                             // 0000000075CC: D1ED00E5 00D26935
	v_cmp_u_f32_e64 s[48:49], v244, v244                       // 0000000075D4: D0480030 0003E9F4
	v_add3_u32 v45, v244, v48, 1                               // 0000000075DC: D1FF002D 020661F4
	v_cndmask_b32_e64 v52, v45, v47, s[48:49]                  // 0000000075E4: D1000034 00C25F2D
	v_cmp_u_f32_e64 s[48:49], v245, v245                       // 0000000075EC: D0480030 0003EBF5
	v_add3_u32 v45, v245, v48, 1                               // 0000000075F4: D1FF002D 020661F5
	v_cndmask_b32_e64 v53, v45, v47, s[48:49]                  // 0000000075FC: D1000035 00C25F2D
	v_perm_b32 v230, v53, v52, s52                             // 000000007604: D1ED00E6 00D26935
	v_cmp_u_f32_e64 s[48:49], v246, v246                       // 00000000760C: D0480030 0003EDF6
	v_add3_u32 v45, v246, v48, 1                               // 000000007614: D1FF002D 020661F6
	v_cndmask_b32_e64 v52, v45, v47, s[48:49]                  // 00000000761C: D1000034 00C25F2D
	v_cmp_u_f32_e64 s[48:49], v247, v247                       // 000000007624: D0480030 0003EFF7
	v_add3_u32 v45, v247, v48, 1                               // 00000000762C: D1FF002D 020661F7
	v_cndmask_b32_e64 v53, v45, v47, s[48:49]                  // 000000007634: D1000035 00C25F2D
	v_perm_b32 v231, v53, v52, s52                             // 00000000763C: D1ED00E7 00D26935
	ds_write_b64 v3, v[216:217] offset:33024                   // 000000007644: D89A8100 0000D803
	ds_write_b64 v3, v[218:219] offset:41728                   // 00000000764C: D89AA300 0000DA03
	ds_write_b64 v3, v[220:221] offset:35200                   // 000000007654: D89A8980 0000DC03
	ds_write_b64 v3, v[222:223] offset:43904                   // 00000000765C: D89AAB80 0000DE03
	ds_write_b64 v3, v[224:225] offset:37376                   // 000000007664: D89A9200 0000E003
	ds_write_b64 v3, v[226:227] offset:46080                   // 00000000766C: D89AB400 0000E203
	ds_write_b64 v3, v[228:229] offset:39552                   // 000000007674: D89A9A80 0000E403
	ds_write_b64 v3, v[230:231] offset:48256                   // 00000000767C: D89ABC80 0000E603
	s_waitcnt lgkmcnt(0)                                       // 000000007684: BF8CC07F
	s_barrier                                                  // 000000007688: BF8A0000
	ds_read_b32 v64, v4 offset:33024                           // 00000000768C: D86C8100 40000004
	ds_read_b32 v65, v4 offset:37376                           // 000000007694: D86C9200 41000004
	ds_read_b32 v66, v4 offset:33056                           // 00000000769C: D86C8120 42000004
	ds_read_b32 v67, v4 offset:37408                           // 0000000076A4: D86C9220 43000004
	ds_read_b32 v68, v4 offset:33088                           // 0000000076AC: D86C8140 44000004
	ds_read_b32 v69, v4 offset:37440                           // 0000000076B4: D86C9240 45000004
	ds_read_b32 v70, v4 offset:33120                           // 0000000076BC: D86C8160 46000004
	ds_read_b32 v71, v4 offset:37472                           // 0000000076C4: D86C9260 47000004
	ds_read_b32 v72, v4 offset:41728                           // 0000000076CC: D86CA300 48000004
	ds_read_b32 v73, v4 offset:46080                           // 0000000076D4: D86CB400 49000004
	ds_read_b32 v74, v4 offset:41760                           // 0000000076DC: D86CA320 4A000004
	ds_read_b32 v75, v4 offset:46112                           // 0000000076E4: D86CB420 4B000004
	ds_read_b32 v76, v4 offset:41792                           // 0000000076EC: D86CA340 4C000004
	ds_read_b32 v77, v4 offset:46144                           // 0000000076F4: D86CB440 4D000004
	ds_read_b32 v78, v4 offset:41824                           // 0000000076FC: D86CA360 4E000004
	ds_read_b32 v79, v4 offset:46176                           // 000000007704: D86CB460 4F000004
	s_waitcnt lgkmcnt(0)                                       // 00000000770C: BF8CC07F
	s_mov_b64 exec, s[20:21]                                   // 000000007710: BEFE0114
	global_atomic_pk_add_bf16 v80, v64, s[8:9]                 // 000000007714: DD488000 00084050
	s_mov_b64 exec, s[36:37]                                   // 00000000771C: BEFE0124
	s_mov_b64 exec, s[20:21]                                   // 000000007720: BEFE0114
	global_atomic_pk_add_bf16 v80, v65, s[8:9] offset:256      // 000000007724: DD488100 00084150
	s_mov_b64 exec, s[36:37]                                   // 00000000772C: BEFE0124
	s_mov_b64 exec, s[22:23]                                   // 000000007730: BEFE0116
	global_atomic_pk_add_bf16 v82, v66, s[8:9]                 // 000000007734: DD488000 00084252
	s_mov_b64 exec, s[36:37]                                   // 00000000773C: BEFE0124
	s_mov_b64 exec, s[22:23]                                   // 000000007740: BEFE0116
	global_atomic_pk_add_bf16 v82, v67, s[8:9] offset:256      // 000000007744: DD488100 00084352
	s_mov_b64 exec, s[36:37]                                   // 00000000774C: BEFE0124
	s_mov_b64 exec, s[24:25]                                   // 000000007750: BEFE0118
	global_atomic_pk_add_bf16 v84, v68, s[8:9]                 // 000000007754: DD488000 00084454
	s_mov_b64 exec, s[36:37]                                   // 00000000775C: BEFE0124
	s_mov_b64 exec, s[24:25]                                   // 000000007760: BEFE0118
	global_atomic_pk_add_bf16 v84, v69, s[8:9] offset:256      // 000000007764: DD488100 00084554
	s_mov_b64 exec, s[36:37]                                   // 00000000776C: BEFE0124
	s_mov_b64 exec, s[26:27]                                   // 000000007770: BEFE011A
	global_atomic_pk_add_bf16 v86, v70, s[8:9]                 // 000000007774: DD488000 00084656
	s_mov_b64 exec, s[36:37]                                   // 00000000777C: BEFE0124
	s_mov_b64 exec, s[26:27]                                   // 000000007780: BEFE011A
	global_atomic_pk_add_bf16 v86, v71, s[8:9] offset:256      // 000000007784: DD488100 00084756
	s_mov_b64 exec, s[36:37]                                   // 00000000778C: BEFE0124
	s_mov_b64 exec, s[28:29]                                   // 000000007790: BEFE011C
	global_atomic_pk_add_bf16 v88, v72, s[8:9]                 // 000000007794: DD488000 00084858
	s_mov_b64 exec, s[36:37]                                   // 00000000779C: BEFE0124
	s_mov_b64 exec, s[28:29]                                   // 0000000077A0: BEFE011C
	global_atomic_pk_add_bf16 v88, v73, s[8:9] offset:256      // 0000000077A4: DD488100 00084958
	s_mov_b64 exec, s[36:37]                                   // 0000000077AC: BEFE0124
	s_mov_b64 exec, s[30:31]                                   // 0000000077B0: BEFE011E
	global_atomic_pk_add_bf16 v90, v74, s[8:9]                 // 0000000077B4: DD488000 00084A5A
	s_mov_b64 exec, s[36:37]                                   // 0000000077BC: BEFE0124
	s_mov_b64 exec, s[30:31]                                   // 0000000077C0: BEFE011E
	global_atomic_pk_add_bf16 v90, v75, s[8:9] offset:256      // 0000000077C4: DD488100 00084B5A
	s_mov_b64 exec, s[36:37]                                   // 0000000077CC: BEFE0124
	s_mov_b64 exec, s[32:33]                                   // 0000000077D0: BEFE0120
	global_atomic_pk_add_bf16 v92, v76, s[8:9]                 // 0000000077D4: DD488000 00084C5C
	s_mov_b64 exec, s[36:37]                                   // 0000000077DC: BEFE0124
	s_mov_b64 exec, s[32:33]                                   // 0000000077E0: BEFE0120
	global_atomic_pk_add_bf16 v92, v77, s[8:9] offset:256      // 0000000077E4: DD488100 00084D5C
	s_mov_b64 exec, s[36:37]                                   // 0000000077EC: BEFE0124
	s_mov_b64 exec, s[34:35]                                   // 0000000077F0: BEFE0122
	global_atomic_pk_add_bf16 v94, v78, s[8:9]                 // 0000000077F4: DD488000 00084E5E
	s_mov_b64 exec, s[36:37]                                   // 0000000077FC: BEFE0124
	s_mov_b64 exec, s[34:35]                                   // 000000007800: BEFE0122
	global_atomic_pk_add_bf16 v94, v79, s[8:9] offset:256      // 000000007804: DD488100 00084F5E
	s_mov_b64 exec, s[36:37]                                   // 00000000780C: BEFE0124
	s_add_u32 s8, s59, s8                                      // 000000007810: 8008083B
	s_addc_u32 s9, 0, s9                                       // 000000007814: 82090980
	s_addk_i32 s80, 0x100                                      // 000000007818: B7500100
	s_cmp_lt_i32 s80, s81                                      // 00000000781C: BF045150
	s_cbranch_scc0 label_134A                                  // 000000007820: BF840001
	s_branch label_0D29                                        // 000000007824: BF82F9DF

0000000000007828 <label_134A>:
	s_nop 0                                                    // 000000007828: BF800000
	s_nop 0                                                    // 00000000782C: BF800000
	s_branch label_23DA                                        // 000000007830: BF82108D

0000000000007834 <label_134D>:
	s_waitcnt vmcnt(20) lgkmcnt(0)                             // 000000007834: BF8C4074
	s_barrier                                                  // 000000007838: BF8A0000
	v_mfma_f32_16x16x32_fp8_fp8 v[128:131], a[0:1], v[184:185], v[128:131]// 00000000783C: D3F30080 0E037100
	buffer_load_dwordx4 a[112:115], v34, s[92:95], 0 offen     // 000000007844: E05C1000 80977022
	v_mfma_f32_16x16x32_fp8_fp8 v[128:131], a[2:3], v[186:187], v[128:131]// 00000000784C: D3F30080 0E037502
	v_mfma_f32_16x16x32_fp8_fp8 v[128:131], a[4:5], v[188:189], v[128:131]// 000000007854: D3F30080 0E037904
	buffer_load_dword v26, s[20:23], 0 offen lds               // 00000000785C: E0511000 8005001A
	s_add_u32 m0, 0x100, s51                                   // 000000007864: 807C33FF 00000100
	v_mfma_f32_16x16x32_fp8_fp8 v[128:131], a[6:7], v[190:191], v[128:131]// 00000000786C: D3F30080 0E037D06
	v_mfma_f32_16x16x32_fp8_fp8 v[128:131], a[8:9], v[192:193], v[128:131]// 000000007874: D3F30080 0E038108
	buffer_load_dwordx4 a[116:119], v34, s[92:95], 0 offen offset:1024// 00000000787C: E05C1400 80977422
	v_mfma_f32_16x16x32_fp8_fp8 v[128:131], a[10:11], v[194:195], v[128:131]// 000000007884: D3F30080 0E03850A
	v_mfma_f32_16x16x32_fp8_fp8 v[128:131], a[12:13], v[196:197], v[128:131]// 00000000788C: D3F30080 0E03890C
	buffer_load_dword v27, s[20:23], 0 offen lds               // 000000007894: E0511000 8005001B
	s_add_u32 m0, 0x200, s51                                   // 00000000789C: 807C33FF 00000200
	v_mfma_f32_16x16x32_fp8_fp8 v[128:131], a[14:15], v[198:199], v[128:131]// 0000000078A4: D3F30080 0E038D0E
	v_mfma_f32_16x16x32_fp8_fp8 v[132:135], a[0:1], v[200:201], v[132:135]// 0000000078AC: D3F30084 0E139100
	buffer_load_dwordx4 a[120:123], v34, s[92:95], 0 offen offset:2048// 0000000078B4: E05C1800 80977822
	v_mfma_f32_16x16x32_fp8_fp8 v[132:135], a[2:3], v[202:203], v[132:135]// 0000000078BC: D3F30084 0E139502
	v_mfma_f32_16x16x32_fp8_fp8 v[132:135], a[4:5], v[204:205], v[132:135]// 0000000078C4: D3F30084 0E139904
	buffer_load_dword v28, s[20:23], 0 offen lds               // 0000000078CC: E0511000 8005001C
	s_add_u32 m0, 0x300, s51                                   // 0000000078D4: 807C33FF 00000300
	v_mfma_f32_16x16x32_fp8_fp8 v[132:135], a[6:7], v[206:207], v[132:135]// 0000000078DC: D3F30084 0E139D06
	v_mfma_f32_16x16x32_fp8_fp8 v[132:135], a[8:9], v[208:209], v[132:135]// 0000000078E4: D3F30084 0E13A108
	buffer_load_dwordx4 a[124:127], v34, s[92:95], 0 offen offset:3072// 0000000078EC: E05C1C00 80977C22
	v_mfma_f32_16x16x32_fp8_fp8 v[132:135], a[10:11], v[210:211], v[132:135]// 0000000078F4: D3F30084 0E13A50A
	v_mfma_f32_16x16x32_fp8_fp8 v[132:135], a[12:13], v[212:213], v[132:135]// 0000000078FC: D3F30084 0E13A90C
	buffer_load_dword v29, s[20:23], 0 offen lds               // 000000007904: E0511000 8005001D
	s_add_u32 m0, 0x400, s51                                   // 00000000790C: 807C33FF 00000400
	v_mfma_f32_16x16x32_fp8_fp8 v[132:135], a[14:15], v[214:215], v[132:135]// 000000007914: D3F30084 0E13AD0E
	v_mfma_f32_16x16x32_fp8_fp8 v[136:139], a[16:17], v[184:185], v[136:139]// 00000000791C: D3F30088 0E237110
	buffer_load_dwordx4 a[128:131], v35, s[92:95], 0 offen     // 000000007924: E05C1000 80978023
	v_mfma_f32_16x16x32_fp8_fp8 v[136:139], a[18:19], v[186:187], v[136:139]// 00000000792C: D3F30088 0E237512
	v_mfma_f32_16x16x32_fp8_fp8 v[136:139], a[20:21], v[188:189], v[136:139]// 000000007934: D3F30088 0E237914
	buffer_load_dword v30, s[20:23], 0 offen lds               // 00000000793C: E0511000 8005001E
	s_add_u32 m0, 0x500, s51                                   // 000000007944: 807C33FF 00000500
	v_mfma_f32_16x16x32_fp8_fp8 v[136:139], a[22:23], v[190:191], v[136:139]// 00000000794C: D3F30088 0E237D16
	v_mfma_f32_16x16x32_fp8_fp8 v[136:139], a[24:25], v[192:193], v[136:139]// 000000007954: D3F30088 0E238118
	buffer_load_dwordx4 a[132:135], v35, s[92:95], 0 offen offset:1024// 00000000795C: E05C1400 80978423
	v_mfma_f32_16x16x32_fp8_fp8 v[136:139], a[26:27], v[194:195], v[136:139]// 000000007964: D3F30088 0E23851A
	v_mfma_f32_16x16x32_fp8_fp8 v[136:139], a[28:29], v[196:197], v[136:139]// 00000000796C: D3F30088 0E23891C
	buffer_load_dword v31, s[20:23], 0 offen lds               // 000000007974: E0511000 8005001F
	s_add_u32 m0, 0x600, s51                                   // 00000000797C: 807C33FF 00000600
	v_mfma_f32_16x16x32_fp8_fp8 v[136:139], a[30:31], v[198:199], v[136:139]// 000000007984: D3F30088 0E238D1E
	v_mfma_f32_16x16x32_fp8_fp8 v[140:143], a[16:17], v[200:201], v[140:143]// 00000000798C: D3F3008C 0E339110
	buffer_load_dwordx4 a[136:139], v35, s[92:95], 0 offen offset:2048// 000000007994: E05C1800 80978823
	v_mfma_f32_16x16x32_fp8_fp8 v[140:143], a[18:19], v[202:203], v[140:143]// 00000000799C: D3F3008C 0E339512
	v_mfma_f32_16x16x32_fp8_fp8 v[140:143], a[20:21], v[204:205], v[140:143]// 0000000079A4: D3F3008C 0E339914
	buffer_load_dword v32, s[20:23], 0 offen lds               // 0000000079AC: E0511000 80050020
	s_add_u32 m0, 0x700, s51                                   // 0000000079B4: 807C33FF 00000700
	v_mfma_f32_16x16x32_fp8_fp8 v[140:143], a[22:23], v[206:207], v[140:143]// 0000000079BC: D3F3008C 0E339D16
	v_mfma_f32_16x16x32_fp8_fp8 v[140:143], a[24:25], v[208:209], v[140:143]// 0000000079C4: D3F3008C 0E33A118
	buffer_load_dwordx4 a[140:143], v35, s[92:95], 0 offen offset:3072// 0000000079CC: E05C1C00 80978C23
	v_mfma_f32_16x16x32_fp8_fp8 v[140:143], a[26:27], v[210:211], v[140:143]// 0000000079D4: D3F3008C 0E33A51A
	v_mfma_f32_16x16x32_fp8_fp8 v[140:143], a[28:29], v[212:213], v[140:143]// 0000000079DC: D3F3008C 0E33A91C
	buffer_load_dword v33, s[20:23], 0 offen lds               // 0000000079E4: E0511000 80050021
	s_add_u32 m0, 0, s50                                       // 0000000079EC: 807C3280
	v_mfma_f32_16x16x32_fp8_fp8 v[140:143], a[30:31], v[214:215], v[140:143]// 0000000079F0: D3F3008C 0E33AD1E
	s_waitcnt vmcnt(32)                                        // 0000000079F8: BF8C8F70
	v_mfma_f32_16x16x32_fp8_fp8 v[144:147], a[32:33], v[184:185], v[144:147]// 0000000079FC: D3F30090 0E437120
	buffer_load_dwordx4 a[144:147], v36, s[92:95], 0 offen     // 000000007A04: E05C1000 80979024
	v_mfma_f32_16x16x32_fp8_fp8 v[144:147], a[34:35], v[186:187], v[144:147]// 000000007A0C: D3F30090 0E437522
	v_mfma_f32_16x16x32_fp8_fp8 v[144:147], a[36:37], v[188:189], v[144:147]// 000000007A14: D3F30090 0E437924
	v_mfma_f32_16x16x32_fp8_fp8 v[144:147], a[38:39], v[190:191], v[144:147]// 000000007A1C: D3F30090 0E437D26
	v_mfma_f32_16x16x32_fp8_fp8 v[144:147], a[40:41], v[192:193], v[144:147]// 000000007A24: D3F30090 0E438128
	buffer_load_dwordx4 a[148:151], v36, s[92:95], 0 offen offset:1024// 000000007A2C: E05C1400 80979424
	v_mfma_f32_16x16x32_fp8_fp8 v[144:147], a[42:43], v[194:195], v[144:147]// 000000007A34: D3F30090 0E43852A
	v_mfma_f32_16x16x32_fp8_fp8 v[144:147], a[44:45], v[196:197], v[144:147]// 000000007A3C: D3F30090 0E43892C
	v_mfma_f32_16x16x32_fp8_fp8 v[144:147], a[46:47], v[198:199], v[144:147]// 000000007A44: D3F30090 0E438D2E
	v_mfma_f32_16x16x32_fp8_fp8 v[148:151], a[32:33], v[200:201], v[148:151]// 000000007A4C: D3F30094 0E539120
	buffer_load_dwordx4 a[152:155], v36, s[92:95], 0 offen offset:2048// 000000007A54: E05C1800 80979824
	v_mfma_f32_16x16x32_fp8_fp8 v[148:151], a[34:35], v[202:203], v[148:151]// 000000007A5C: D3F30094 0E539522
	v_mfma_f32_16x16x32_fp8_fp8 v[148:151], a[36:37], v[204:205], v[148:151]// 000000007A64: D3F30094 0E539924
	v_mfma_f32_16x16x32_fp8_fp8 v[148:151], a[38:39], v[206:207], v[148:151]// 000000007A6C: D3F30094 0E539D26
	v_mfma_f32_16x16x32_fp8_fp8 v[148:151], a[40:41], v[208:209], v[148:151]// 000000007A74: D3F30094 0E53A128
	buffer_load_dwordx4 a[156:159], v36, s[92:95], 0 offen offset:3072// 000000007A7C: E05C1C00 80979C24
	v_mfma_f32_16x16x32_fp8_fp8 v[148:151], a[42:43], v[210:211], v[148:151]// 000000007A84: D3F30094 0E53A52A
	v_mfma_f32_16x16x32_fp8_fp8 v[148:151], a[44:45], v[212:213], v[148:151]// 000000007A8C: D3F30094 0E53A92C
	v_mfma_f32_16x16x32_fp8_fp8 v[148:151], a[46:47], v[214:215], v[148:151]// 000000007A94: D3F30094 0E53AD2E
	s_waitcnt vmcnt(32)                                        // 000000007A9C: BF8C8F70
	v_mfma_f32_16x16x32_fp8_fp8 v[152:155], a[48:49], v[184:185], v[152:155]// 000000007AA0: D3F30098 0E637130
	buffer_load_dwordx4 a[160:163], v37, s[92:95], 0 offen     // 000000007AA8: E05C1000 8097A025
	v_mfma_f32_16x16x32_fp8_fp8 v[152:155], a[50:51], v[186:187], v[152:155]// 000000007AB0: D3F30098 0E637532
	v_mfma_f32_16x16x32_fp8_fp8 v[152:155], a[52:53], v[188:189], v[152:155]// 000000007AB8: D3F30098 0E637934
	v_mfma_f32_16x16x32_fp8_fp8 v[152:155], a[54:55], v[190:191], v[152:155]// 000000007AC0: D3F30098 0E637D36
	v_mfma_f32_16x16x32_fp8_fp8 v[152:155], a[56:57], v[192:193], v[152:155]// 000000007AC8: D3F30098 0E638138
	buffer_load_dwordx4 a[164:167], v37, s[92:95], 0 offen offset:1024// 000000007AD0: E05C1400 8097A425
	v_mfma_f32_16x16x32_fp8_fp8 v[152:155], a[58:59], v[194:195], v[152:155]// 000000007AD8: D3F30098 0E63853A
	v_mfma_f32_16x16x32_fp8_fp8 v[152:155], a[60:61], v[196:197], v[152:155]// 000000007AE0: D3F30098 0E63893C
	v_mfma_f32_16x16x32_fp8_fp8 v[152:155], a[62:63], v[198:199], v[152:155]// 000000007AE8: D3F30098 0E638D3E
	v_mfma_f32_16x16x32_fp8_fp8 v[156:159], a[48:49], v[200:201], v[156:159]// 000000007AF0: D3F3009C 0E739130
	buffer_load_dwordx4 a[168:171], v37, s[92:95], 0 offen offset:2048// 000000007AF8: E05C1800 8097A825
	v_mfma_f32_16x16x32_fp8_fp8 v[156:159], a[50:51], v[202:203], v[156:159]// 000000007B00: D3F3009C 0E739532
	v_mfma_f32_16x16x32_fp8_fp8 v[156:159], a[52:53], v[204:205], v[156:159]// 000000007B08: D3F3009C 0E739934
	v_mfma_f32_16x16x32_fp8_fp8 v[156:159], a[54:55], v[206:207], v[156:159]// 000000007B10: D3F3009C 0E739D36
	v_mfma_f32_16x16x32_fp8_fp8 v[156:159], a[56:57], v[208:209], v[156:159]// 000000007B18: D3F3009C 0E73A138
	buffer_load_dwordx4 a[172:175], v37, s[92:95], 0 offen offset:3072// 000000007B20: E05C1C00 8097AC25
	v_mfma_f32_16x16x32_fp8_fp8 v[156:159], a[58:59], v[210:211], v[156:159]// 000000007B28: D3F3009C 0E73A53A
	v_mfma_f32_16x16x32_fp8_fp8 v[156:159], a[60:61], v[212:213], v[156:159]// 000000007B30: D3F3009C 0E73A93C
	v_mfma_f32_16x16x32_fp8_fp8 v[156:159], a[62:63], v[214:215], v[156:159]// 000000007B38: D3F3009C 0E73AD3E
	s_waitcnt vmcnt(32)                                        // 000000007B40: BF8C8F70
	v_mfma_f32_16x16x32_fp8_fp8 v[160:163], a[64:65], v[184:185], v[160:163]// 000000007B44: D3F300A0 0E837140
	buffer_load_dwordx4 a[176:179], v38, s[92:95], 0 offen     // 000000007B4C: E05C1000 8097B026
	v_mfma_f32_16x16x32_fp8_fp8 v[160:163], a[66:67], v[186:187], v[160:163]// 000000007B54: D3F300A0 0E837542
	v_mfma_f32_16x16x32_fp8_fp8 v[160:163], a[68:69], v[188:189], v[160:163]// 000000007B5C: D3F300A0 0E837944
	v_mfma_f32_16x16x32_fp8_fp8 v[160:163], a[70:71], v[190:191], v[160:163]// 000000007B64: D3F300A0 0E837D46
	v_mfma_f32_16x16x32_fp8_fp8 v[160:163], a[72:73], v[192:193], v[160:163]// 000000007B6C: D3F300A0 0E838148
	buffer_load_dwordx4 a[180:183], v38, s[92:95], 0 offen offset:1024// 000000007B74: E05C1400 8097B426
	v_mfma_f32_16x16x32_fp8_fp8 v[160:163], a[74:75], v[194:195], v[160:163]// 000000007B7C: D3F300A0 0E83854A
	v_mfma_f32_16x16x32_fp8_fp8 v[160:163], a[76:77], v[196:197], v[160:163]// 000000007B84: D3F300A0 0E83894C
	v_mfma_f32_16x16x32_fp8_fp8 v[160:163], a[78:79], v[198:199], v[160:163]// 000000007B8C: D3F300A0 0E838D4E
	v_mfma_f32_16x16x32_fp8_fp8 v[164:167], a[64:65], v[200:201], v[164:167]// 000000007B94: D3F300A4 0E939140
	buffer_load_dwordx4 a[184:187], v38, s[92:95], 0 offen offset:2048// 000000007B9C: E05C1800 8097B826
	v_mfma_f32_16x16x32_fp8_fp8 v[164:167], a[66:67], v[202:203], v[164:167]// 000000007BA4: D3F300A4 0E939542
	v_mfma_f32_16x16x32_fp8_fp8 v[164:167], a[68:69], v[204:205], v[164:167]// 000000007BAC: D3F300A4 0E939944
	v_mfma_f32_16x16x32_fp8_fp8 v[164:167], a[70:71], v[206:207], v[164:167]// 000000007BB4: D3F300A4 0E939D46
	v_mfma_f32_16x16x32_fp8_fp8 v[164:167], a[72:73], v[208:209], v[164:167]// 000000007BBC: D3F300A4 0E93A148
	buffer_load_dwordx4 a[188:191], v38, s[92:95], 0 offen offset:3072// 000000007BC4: E05C1C00 8097BC26
	v_mfma_f32_16x16x32_fp8_fp8 v[164:167], a[74:75], v[210:211], v[164:167]// 000000007BCC: D3F300A4 0E93A54A
	v_mfma_f32_16x16x32_fp8_fp8 v[164:167], a[76:77], v[212:213], v[164:167]// 000000007BD4: D3F300A4 0E93A94C
	v_mfma_f32_16x16x32_fp8_fp8 v[164:167], a[78:79], v[214:215], v[164:167]// 000000007BDC: D3F300A4 0E93AD4E
	s_waitcnt vmcnt(32)                                        // 000000007BE4: BF8C8F70
	v_mfma_f32_16x16x32_fp8_fp8 v[168:171], a[80:81], v[184:185], v[168:171]// 000000007BE8: D3F300A8 0EA37150
	buffer_load_dwordx4 a[192:195], v39, s[92:95], 0 offen     // 000000007BF0: E05C1000 8097C027
	v_mfma_f32_16x16x32_fp8_fp8 v[168:171], a[82:83], v[186:187], v[168:171]// 000000007BF8: D3F300A8 0EA37552
	v_mfma_f32_16x16x32_fp8_fp8 v[168:171], a[84:85], v[188:189], v[168:171]// 000000007C00: D3F300A8 0EA37954
	v_mfma_f32_16x16x32_fp8_fp8 v[168:171], a[86:87], v[190:191], v[168:171]// 000000007C08: D3F300A8 0EA37D56
	v_mfma_f32_16x16x32_fp8_fp8 v[168:171], a[88:89], v[192:193], v[168:171]// 000000007C10: D3F300A8 0EA38158
	buffer_load_dwordx4 a[196:199], v39, s[92:95], 0 offen offset:1024// 000000007C18: E05C1400 8097C427
	v_mfma_f32_16x16x32_fp8_fp8 v[168:171], a[90:91], v[194:195], v[168:171]// 000000007C20: D3F300A8 0EA3855A
	v_mfma_f32_16x16x32_fp8_fp8 v[168:171], a[92:93], v[196:197], v[168:171]// 000000007C28: D3F300A8 0EA3895C
	v_mfma_f32_16x16x32_fp8_fp8 v[168:171], a[94:95], v[198:199], v[168:171]// 000000007C30: D3F300A8 0EA38D5E
	v_mfma_f32_16x16x32_fp8_fp8 v[172:175], a[80:81], v[200:201], v[172:175]// 000000007C38: D3F300AC 0EB39150
	buffer_load_dwordx4 a[200:203], v39, s[92:95], 0 offen offset:2048// 000000007C40: E05C1800 8097C827
	v_mfma_f32_16x16x32_fp8_fp8 v[172:175], a[82:83], v[202:203], v[172:175]// 000000007C48: D3F300AC 0EB39552
	v_mfma_f32_16x16x32_fp8_fp8 v[172:175], a[84:85], v[204:205], v[172:175]// 000000007C50: D3F300AC 0EB39954
	v_mfma_f32_16x16x32_fp8_fp8 v[172:175], a[86:87], v[206:207], v[172:175]// 000000007C58: D3F300AC 0EB39D56
	v_mfma_f32_16x16x32_fp8_fp8 v[172:175], a[88:89], v[208:209], v[172:175]// 000000007C60: D3F300AC 0EB3A158
	buffer_load_dwordx4 a[204:207], v39, s[92:95], 0 offen offset:3072// 000000007C68: E05C1C00 8097CC27
	v_mfma_f32_16x16x32_fp8_fp8 v[172:175], a[90:91], v[210:211], v[172:175]// 000000007C70: D3F300AC 0EB3A55A
	v_mfma_f32_16x16x32_fp8_fp8 v[172:175], a[92:93], v[212:213], v[172:175]// 000000007C78: D3F300AC 0EB3A95C
	v_mfma_f32_16x16x32_fp8_fp8 v[172:175], a[94:95], v[214:215], v[172:175]// 000000007C80: D3F300AC 0EB3AD5E
	s_waitcnt vmcnt(32)                                        // 000000007C88: BF8C8F70
	v_mfma_f32_16x16x32_fp8_fp8 v[176:179], a[96:97], v[184:185], v[176:179]// 000000007C8C: D3F300B0 0EC37160
	buffer_load_dwordx4 a[208:211], v40, s[92:95], 0 offen     // 000000007C94: E05C1000 8097D028
	v_mfma_f32_16x16x32_fp8_fp8 v[176:179], a[98:99], v[186:187], v[176:179]// 000000007C9C: D3F300B0 0EC37562
	v_mfma_f32_16x16x32_fp8_fp8 v[176:179], a[100:101], v[188:189], v[176:179]// 000000007CA4: D3F300B0 0EC37964
	v_mfma_f32_16x16x32_fp8_fp8 v[176:179], a[102:103], v[190:191], v[176:179]// 000000007CAC: D3F300B0 0EC37D66
	v_mfma_f32_16x16x32_fp8_fp8 v[176:179], a[104:105], v[192:193], v[176:179]// 000000007CB4: D3F300B0 0EC38168
	buffer_load_dwordx4 a[212:215], v40, s[92:95], 0 offen offset:1024// 000000007CBC: E05C1400 8097D428
	v_mfma_f32_16x16x32_fp8_fp8 v[176:179], a[106:107], v[194:195], v[176:179]// 000000007CC4: D3F300B0 0EC3856A
	v_mfma_f32_16x16x32_fp8_fp8 v[176:179], a[108:109], v[196:197], v[176:179]// 000000007CCC: D3F300B0 0EC3896C
	v_mfma_f32_16x16x32_fp8_fp8 v[176:179], a[110:111], v[198:199], v[176:179]// 000000007CD4: D3F300B0 0EC38D6E
	v_mfma_f32_16x16x32_fp8_fp8 v[180:183], a[96:97], v[200:201], v[180:183]// 000000007CDC: D3F300B4 0ED39160
	buffer_load_dwordx4 a[216:219], v40, s[92:95], 0 offen offset:2048// 000000007CE4: E05C1800 8097D828
	v_mfma_f32_16x16x32_fp8_fp8 v[180:183], a[98:99], v[202:203], v[180:183]// 000000007CEC: D3F300B4 0ED39562
	v_mfma_f32_16x16x32_fp8_fp8 v[180:183], a[100:101], v[204:205], v[180:183]// 000000007CF4: D3F300B4 0ED39964
	v_mfma_f32_16x16x32_fp8_fp8 v[180:183], a[102:103], v[206:207], v[180:183]// 000000007CFC: D3F300B4 0ED39D66
	v_mfma_f32_16x16x32_fp8_fp8 v[180:183], a[104:105], v[208:209], v[180:183]// 000000007D04: D3F300B4 0ED3A168
	buffer_load_dwordx4 a[220:223], v40, s[92:95], 0 offen offset:3072// 000000007D0C: E05C1C00 8097DC28
	v_mfma_f32_16x16x32_fp8_fp8 v[180:183], a[106:107], v[210:211], v[180:183]// 000000007D14: D3F300B4 0ED3A56A
	v_mfma_f32_16x16x32_fp8_fp8 v[180:183], a[108:109], v[212:213], v[180:183]// 000000007D1C: D3F300B4 0ED3A96C
	v_mfma_f32_16x16x32_fp8_fp8 v[180:183], a[110:111], v[214:215], v[180:183]// 000000007D24: D3F300B4 0ED3AD6E
	s_waitcnt vmcnt(20)                                        // 000000007D2C: BF8C4F74
	s_barrier                                                  // 000000007D30: BF8A0000
	v_mfma_f32_16x16x32_fp8_fp8 v[64:67], a[112:113], v[184:185], v[64:67]// 000000007D34: D3F30040 0D037170
	buffer_load_dwordx4 a[0:3], v34, s[24:27], 0 offen         // 000000007D3C: E05C1000 80860022
	v_mfma_f32_16x16x32_fp8_fp8 v[64:67], a[114:115], v[186:187], v[64:67]// 000000007D44: D3F30040 0D037572
	v_mfma_f32_16x16x32_fp8_fp8 v[64:67], a[116:117], v[188:189], v[64:67]// 000000007D4C: D3F30040 0D037974
	v_mfma_f32_16x16x32_fp8_fp8 v[64:67], a[118:119], v[190:191], v[64:67]// 000000007D54: D3F30040 0D037D76
	v_mfma_f32_16x16x32_fp8_fp8 v[64:67], a[120:121], v[192:193], v[64:67]// 000000007D5C: D3F30040 0D038178
	buffer_load_dwordx4 a[4:7], v34, s[24:27], 0 offen offset:1024// 000000007D64: E05C1400 80860422
	v_mfma_f32_16x16x32_fp8_fp8 v[64:67], a[122:123], v[194:195], v[64:67]// 000000007D6C: D3F30040 0D03857A
	v_mfma_f32_16x16x32_fp8_fp8 v[64:67], a[124:125], v[196:197], v[64:67]// 000000007D74: D3F30040 0D03897C
	v_mfma_f32_16x16x32_fp8_fp8 v[64:67], a[126:127], v[198:199], v[64:67]// 000000007D7C: D3F30040 0D038D7E
	v_mfma_f32_16x16x32_fp8_fp8 v[68:71], a[112:113], v[200:201], v[68:71]// 000000007D84: D3F30044 0D139170
	buffer_load_dwordx4 a[8:11], v34, s[24:27], 0 offen offset:2048// 000000007D8C: E05C1800 80860822
	v_mfma_f32_16x16x32_fp8_fp8 v[68:71], a[114:115], v[202:203], v[68:71]// 000000007D94: D3F30044 0D139572
	v_mfma_f32_16x16x32_fp8_fp8 v[68:71], a[116:117], v[204:205], v[68:71]// 000000007D9C: D3F30044 0D139974
	v_mfma_f32_16x16x32_fp8_fp8 v[68:71], a[118:119], v[206:207], v[68:71]// 000000007DA4: D3F30044 0D139D76
	v_mfma_f32_16x16x32_fp8_fp8 v[68:71], a[120:121], v[208:209], v[68:71]// 000000007DAC: D3F30044 0D13A178
	buffer_load_dwordx4 a[12:15], v34, s[24:27], 0 offen offset:3072// 000000007DB4: E05C1C00 80860C22
	v_mfma_f32_16x16x32_fp8_fp8 v[68:71], a[122:123], v[210:211], v[68:71]// 000000007DBC: D3F30044 0D13A57A
	v_mfma_f32_16x16x32_fp8_fp8 v[68:71], a[124:125], v[212:213], v[68:71]// 000000007DC4: D3F30044 0D13A97C
	v_mfma_f32_16x16x32_fp8_fp8 v[68:71], a[126:127], v[214:215], v[68:71]// 000000007DCC: D3F30044 0D13AD7E
	v_mfma_f32_16x16x32_fp8_fp8 v[72:75], a[128:129], v[184:185], v[72:75]// 000000007DD4: D3F30048 0D237180
	buffer_load_dwordx4 a[16:19], v35, s[24:27], 0 offen       // 000000007DDC: E05C1000 80861023
	v_mfma_f32_16x16x32_fp8_fp8 v[72:75], a[130:131], v[186:187], v[72:75]// 000000007DE4: D3F30048 0D237582
	v_mfma_f32_16x16x32_fp8_fp8 v[72:75], a[132:133], v[188:189], v[72:75]// 000000007DEC: D3F30048 0D237984
	v_mfma_f32_16x16x32_fp8_fp8 v[72:75], a[134:135], v[190:191], v[72:75]// 000000007DF4: D3F30048 0D237D86
	v_mfma_f32_16x16x32_fp8_fp8 v[72:75], a[136:137], v[192:193], v[72:75]// 000000007DFC: D3F30048 0D238188
	buffer_load_dwordx4 a[20:23], v35, s[24:27], 0 offen offset:1024// 000000007E04: E05C1400 80861423
	v_mfma_f32_16x16x32_fp8_fp8 v[72:75], a[138:139], v[194:195], v[72:75]// 000000007E0C: D3F30048 0D23858A
	v_mfma_f32_16x16x32_fp8_fp8 v[72:75], a[140:141], v[196:197], v[72:75]// 000000007E14: D3F30048 0D23898C
	v_mfma_f32_16x16x32_fp8_fp8 v[72:75], a[142:143], v[198:199], v[72:75]// 000000007E1C: D3F30048 0D238D8E
	v_mfma_f32_16x16x32_fp8_fp8 v[76:79], a[128:129], v[200:201], v[76:79]// 000000007E24: D3F3004C 0D339180
	buffer_load_dwordx4 a[24:27], v35, s[24:27], 0 offen offset:2048// 000000007E2C: E05C1800 80861823
	v_mfma_f32_16x16x32_fp8_fp8 v[76:79], a[130:131], v[202:203], v[76:79]// 000000007E34: D3F3004C 0D339582
	v_mfma_f32_16x16x32_fp8_fp8 v[76:79], a[132:133], v[204:205], v[76:79]// 000000007E3C: D3F3004C 0D339984
	v_mfma_f32_16x16x32_fp8_fp8 v[76:79], a[134:135], v[206:207], v[76:79]// 000000007E44: D3F3004C 0D339D86
	v_mfma_f32_16x16x32_fp8_fp8 v[76:79], a[136:137], v[208:209], v[76:79]// 000000007E4C: D3F3004C 0D33A188
	buffer_load_dwordx4 a[28:31], v35, s[24:27], 0 offen offset:3072// 000000007E54: E05C1C00 80861C23
	v_mfma_f32_16x16x32_fp8_fp8 v[76:79], a[138:139], v[210:211], v[76:79]// 000000007E5C: D3F3004C 0D33A58A
	v_mfma_f32_16x16x32_fp8_fp8 v[76:79], a[140:141], v[212:213], v[76:79]// 000000007E64: D3F3004C 0D33A98C
	v_mfma_f32_16x16x32_fp8_fp8 v[76:79], a[142:143], v[214:215], v[76:79]// 000000007E6C: D3F3004C 0D33AD8E
	s_waitcnt vmcnt(24)                                        // 000000007E74: BF8C4F78
	v_mfma_f32_16x16x32_fp8_fp8 v[80:83], a[144:145], v[184:185], v[80:83]// 000000007E78: D3F30050 0D437190
	buffer_load_dwordx4 a[32:35], v36, s[24:27], 0 offen       // 000000007E80: E05C1000 80862024
	v_mfma_f32_16x16x32_fp8_fp8 v[80:83], a[146:147], v[186:187], v[80:83]// 000000007E88: D3F30050 0D437592
	v_mfma_f32_16x16x32_fp8_fp8 v[80:83], a[148:149], v[188:189], v[80:83]// 000000007E90: D3F30050 0D437994
	ds_read_b128 v[216:219], v2 offset:8320                    // 000000007E98: D9FE2080 D8000002
	v_mfma_f32_16x16x32_fp8_fp8 v[80:83], a[150:151], v[190:191], v[80:83]// 000000007EA0: D3F30050 0D437D96
	v_mfma_f32_16x16x32_fp8_fp8 v[80:83], a[152:153], v[192:193], v[80:83]// 000000007EA8: D3F30050 0D438198
	buffer_load_dwordx4 a[36:39], v36, s[24:27], 0 offen offset:1024// 000000007EB0: E05C1400 80862424
	v_mfma_f32_16x16x32_fp8_fp8 v[80:83], a[154:155], v[194:195], v[80:83]// 000000007EB8: D3F30050 0D43859A
	v_mfma_f32_16x16x32_fp8_fp8 v[80:83], a[156:157], v[196:197], v[80:83]// 000000007EC0: D3F30050 0D43899C
	ds_read_b128 v[220:223], v2 offset:8384                    // 000000007EC8: D9FE20C0 DC000002
	v_mfma_f32_16x16x32_fp8_fp8 v[80:83], a[158:159], v[198:199], v[80:83]// 000000007ED0: D3F30050 0D438D9E
	v_mfma_f32_16x16x32_fp8_fp8 v[84:87], a[144:145], v[200:201], v[84:87]// 000000007ED8: D3F30054 0D539190
	buffer_load_dwordx4 a[40:43], v36, s[24:27], 0 offen offset:2048// 000000007EE0: E05C1800 80862824
	v_mfma_f32_16x16x32_fp8_fp8 v[84:87], a[146:147], v[202:203], v[84:87]// 000000007EE8: D3F30054 0D539592
	v_mfma_f32_16x16x32_fp8_fp8 v[84:87], a[148:149], v[204:205], v[84:87]// 000000007EF0: D3F30054 0D539994
	ds_read_b128 v[224:227], v2 offset:8448                    // 000000007EF8: D9FE2100 E0000002
	v_mfma_f32_16x16x32_fp8_fp8 v[84:87], a[150:151], v[206:207], v[84:87]// 000000007F00: D3F30054 0D539D96
	v_mfma_f32_16x16x32_fp8_fp8 v[84:87], a[152:153], v[208:209], v[84:87]// 000000007F08: D3F30054 0D53A198
	buffer_load_dwordx4 a[44:47], v36, s[24:27], 0 offen offset:3072// 000000007F10: E05C1C00 80862C24
	v_mfma_f32_16x16x32_fp8_fp8 v[84:87], a[154:155], v[210:211], v[84:87]// 000000007F18: D3F30054 0D53A59A
	v_mfma_f32_16x16x32_fp8_fp8 v[84:87], a[156:157], v[212:213], v[84:87]// 000000007F20: D3F30054 0D53A99C
	ds_read_b128 v[228:231], v2 offset:8512                    // 000000007F28: D9FE2140 E4000002
	v_mfma_f32_16x16x32_fp8_fp8 v[84:87], a[158:159], v[214:215], v[84:87]// 000000007F30: D3F30054 0D53AD9E
	s_waitcnt vmcnt(24)                                        // 000000007F38: BF8C4F78
	v_mfma_f32_16x16x32_fp8_fp8 v[88:91], a[160:161], v[184:185], v[88:91]// 000000007F3C: D3F30058 0D6371A0
	buffer_load_dwordx4 a[48:51], v37, s[24:27], 0 offen       // 000000007F44: E05C1000 80863025
	v_mfma_f32_16x16x32_fp8_fp8 v[88:91], a[162:163], v[186:187], v[88:91]// 000000007F4C: D3F30058 0D6375A2
	v_mfma_f32_16x16x32_fp8_fp8 v[88:91], a[164:165], v[188:189], v[88:91]// 000000007F54: D3F30058 0D6379A4
	ds_read_b128 v[232:235], v2 offset:9344                    // 000000007F5C: D9FE2480 E8000002
	v_mfma_f32_16x16x32_fp8_fp8 v[88:91], a[166:167], v[190:191], v[88:91]// 000000007F64: D3F30058 0D637DA6
	v_mfma_f32_16x16x32_fp8_fp8 v[88:91], a[168:169], v[192:193], v[88:91]// 000000007F6C: D3F30058 0D6381A8
	buffer_load_dwordx4 a[52:55], v37, s[24:27], 0 offen offset:1024// 000000007F74: E05C1400 80863425
	v_mfma_f32_16x16x32_fp8_fp8 v[88:91], a[170:171], v[194:195], v[88:91]// 000000007F7C: D3F30058 0D6385AA
	v_mfma_f32_16x16x32_fp8_fp8 v[88:91], a[172:173], v[196:197], v[88:91]// 000000007F84: D3F30058 0D6389AC
	ds_read_b128 v[236:239], v2 offset:9408                    // 000000007F8C: D9FE24C0 EC000002
	v_mfma_f32_16x16x32_fp8_fp8 v[88:91], a[174:175], v[198:199], v[88:91]// 000000007F94: D3F30058 0D638DAE
	v_mfma_f32_16x16x32_fp8_fp8 v[92:95], a[160:161], v[200:201], v[92:95]// 000000007F9C: D3F3005C 0D7391A0
	buffer_load_dwordx4 a[56:59], v37, s[24:27], 0 offen offset:2048// 000000007FA4: E05C1800 80863825
	v_mfma_f32_16x16x32_fp8_fp8 v[92:95], a[162:163], v[202:203], v[92:95]// 000000007FAC: D3F3005C 0D7395A2
	v_mfma_f32_16x16x32_fp8_fp8 v[92:95], a[164:165], v[204:205], v[92:95]// 000000007FB4: D3F3005C 0D7399A4
	ds_read_b128 v[240:243], v2 offset:9472                    // 000000007FBC: D9FE2500 F0000002
	v_mfma_f32_16x16x32_fp8_fp8 v[92:95], a[166:167], v[206:207], v[92:95]// 000000007FC4: D3F3005C 0D739DA6
	v_mfma_f32_16x16x32_fp8_fp8 v[92:95], a[168:169], v[208:209], v[92:95]// 000000007FCC: D3F3005C 0D73A1A8
	buffer_load_dwordx4 a[60:63], v37, s[24:27], 0 offen offset:3072// 000000007FD4: E05C1C00 80863C25
	v_mfma_f32_16x16x32_fp8_fp8 v[92:95], a[170:171], v[210:211], v[92:95]// 000000007FDC: D3F3005C 0D73A5AA
	v_mfma_f32_16x16x32_fp8_fp8 v[92:95], a[172:173], v[212:213], v[92:95]// 000000007FE4: D3F3005C 0D73A9AC
	ds_read_b128 v[244:247], v2 offset:9536                    // 000000007FEC: D9FE2540 F4000002
	v_mfma_f32_16x16x32_fp8_fp8 v[92:95], a[174:175], v[214:215], v[92:95]// 000000007FF4: D3F3005C 0D73ADAE
	s_waitcnt vmcnt(24)                                        // 000000007FFC: BF8C4F78
	v_mfma_f32_16x16x32_fp8_fp8 v[96:99], a[176:177], v[184:185], v[96:99]// 000000008000: D3F30060 0D8371B0
	buffer_load_dwordx4 a[64:67], v38, s[24:27], 0 offen       // 000000008008: E05C1000 80864026
	v_mfma_f32_16x16x32_fp8_fp8 v[96:99], a[178:179], v[186:187], v[96:99]// 000000008010: D3F30060 0D8375B2
	v_mfma_f32_16x16x32_fp8_fp8 v[96:99], a[180:181], v[188:189], v[96:99]// 000000008018: D3F30060 0D8379B4
	v_mfma_f32_16x16x32_fp8_fp8 v[96:99], a[182:183], v[190:191], v[96:99]// 000000008020: D3F30060 0D837DB6
	v_mfma_f32_16x16x32_fp8_fp8 v[96:99], a[184:185], v[192:193], v[96:99]// 000000008028: D3F30060 0D8381B8
	buffer_load_dwordx4 a[68:71], v38, s[24:27], 0 offen offset:1024// 000000008030: E05C1400 80864426
	v_mfma_f32_16x16x32_fp8_fp8 v[96:99], a[186:187], v[194:195], v[96:99]// 000000008038: D3F30060 0D8385BA
	v_mfma_f32_16x16x32_fp8_fp8 v[96:99], a[188:189], v[196:197], v[96:99]// 000000008040: D3F30060 0D8389BC
	v_mfma_f32_16x16x32_fp8_fp8 v[96:99], a[190:191], v[198:199], v[96:99]// 000000008048: D3F30060 0D838DBE
	v_mfma_f32_16x16x32_fp8_fp8 v[100:103], a[176:177], v[200:201], v[100:103]// 000000008050: D3F30064 0D9391B0
	buffer_load_dwordx4 a[72:75], v38, s[24:27], 0 offen offset:2048// 000000008058: E05C1800 80864826
	v_mfma_f32_16x16x32_fp8_fp8 v[100:103], a[178:179], v[202:203], v[100:103]// 000000008060: D3F30064 0D9395B2
	v_mfma_f32_16x16x32_fp8_fp8 v[100:103], a[180:181], v[204:205], v[100:103]// 000000008068: D3F30064 0D9399B4
	v_mfma_f32_16x16x32_fp8_fp8 v[100:103], a[182:183], v[206:207], v[100:103]// 000000008070: D3F30064 0D939DB6
	v_mfma_f32_16x16x32_fp8_fp8 v[100:103], a[184:185], v[208:209], v[100:103]// 000000008078: D3F30064 0D93A1B8
	buffer_load_dwordx4 a[76:79], v38, s[24:27], 0 offen offset:3072// 000000008080: E05C1C00 80864C26
	v_mfma_f32_16x16x32_fp8_fp8 v[100:103], a[186:187], v[210:211], v[100:103]// 000000008088: D3F30064 0D93A5BA
	v_mfma_f32_16x16x32_fp8_fp8 v[100:103], a[188:189], v[212:213], v[100:103]// 000000008090: D3F30064 0D93A9BC
	v_mfma_f32_16x16x32_fp8_fp8 v[100:103], a[190:191], v[214:215], v[100:103]// 000000008098: D3F30064 0D93ADBE
	s_waitcnt vmcnt(24)                                        // 0000000080A0: BF8C4F78
	v_mfma_f32_16x16x32_fp8_fp8 v[104:107], a[192:193], v[184:185], v[104:107]// 0000000080A4: D3F30068 0DA371C0
	buffer_load_dwordx4 a[80:83], v39, s[24:27], 0 offen       // 0000000080AC: E05C1000 80865027
	v_mfma_f32_16x16x32_fp8_fp8 v[104:107], a[194:195], v[186:187], v[104:107]// 0000000080B4: D3F30068 0DA375C2
	v_mfma_f32_16x16x32_fp8_fp8 v[104:107], a[196:197], v[188:189], v[104:107]// 0000000080BC: D3F30068 0DA379C4
	v_mfma_f32_16x16x32_fp8_fp8 v[104:107], a[198:199], v[190:191], v[104:107]// 0000000080C4: D3F30068 0DA37DC6
	v_mfma_f32_16x16x32_fp8_fp8 v[104:107], a[200:201], v[192:193], v[104:107]// 0000000080CC: D3F30068 0DA381C8
	buffer_load_dwordx4 a[84:87], v39, s[24:27], 0 offen offset:1024// 0000000080D4: E05C1400 80865427
	v_mfma_f32_16x16x32_fp8_fp8 v[104:107], a[202:203], v[194:195], v[104:107]// 0000000080DC: D3F30068 0DA385CA
	v_mfma_f32_16x16x32_fp8_fp8 v[104:107], a[204:205], v[196:197], v[104:107]// 0000000080E4: D3F30068 0DA389CC
	v_mfma_f32_16x16x32_fp8_fp8 v[104:107], a[206:207], v[198:199], v[104:107]// 0000000080EC: D3F30068 0DA38DCE
	v_mfma_f32_16x16x32_fp8_fp8 v[108:111], a[192:193], v[200:201], v[108:111]// 0000000080F4: D3F3006C 0DB391C0
	buffer_load_dwordx4 a[88:91], v39, s[24:27], 0 offen offset:2048// 0000000080FC: E05C1800 80865827
	v_mfma_f32_16x16x32_fp8_fp8 v[108:111], a[194:195], v[202:203], v[108:111]// 000000008104: D3F3006C 0DB395C2
	v_mfma_f32_16x16x32_fp8_fp8 v[108:111], a[196:197], v[204:205], v[108:111]// 00000000810C: D3F3006C 0DB399C4
	v_mfma_f32_16x16x32_fp8_fp8 v[108:111], a[198:199], v[206:207], v[108:111]// 000000008114: D3F3006C 0DB39DC6
	v_mfma_f32_16x16x32_fp8_fp8 v[108:111], a[200:201], v[208:209], v[108:111]// 00000000811C: D3F3006C 0DB3A1C8
	buffer_load_dwordx4 a[92:95], v39, s[24:27], 0 offen offset:3072// 000000008124: E05C1C00 80865C27
	v_mfma_f32_16x16x32_fp8_fp8 v[108:111], a[202:203], v[210:211], v[108:111]// 00000000812C: D3F3006C 0DB3A5CA
	v_mfma_f32_16x16x32_fp8_fp8 v[108:111], a[204:205], v[212:213], v[108:111]// 000000008134: D3F3006C 0DB3A9CC
	v_mfma_f32_16x16x32_fp8_fp8 v[108:111], a[206:207], v[214:215], v[108:111]// 00000000813C: D3F3006C 0DB3ADCE
	s_waitcnt vmcnt(24)                                        // 000000008144: BF8C4F78
	v_mfma_f32_16x16x32_fp8_fp8 v[112:115], a[208:209], v[184:185], v[112:115]// 000000008148: D3F30070 0DC371D0
	buffer_load_dwordx4 a[96:99], v40, s[24:27], 0 offen       // 000000008150: E05C1000 80866028
	v_mfma_f32_16x16x32_fp8_fp8 v[112:115], a[210:211], v[186:187], v[112:115]// 000000008158: D3F30070 0DC375D2
	v_mfma_f32_16x16x32_fp8_fp8 v[112:115], a[212:213], v[188:189], v[112:115]// 000000008160: D3F30070 0DC379D4
	v_mfma_f32_16x16x32_fp8_fp8 v[112:115], a[214:215], v[190:191], v[112:115]// 000000008168: D3F30070 0DC37DD6
	v_mfma_f32_16x16x32_fp8_fp8 v[112:115], a[216:217], v[192:193], v[112:115]// 000000008170: D3F30070 0DC381D8
	buffer_load_dwordx4 a[100:103], v40, s[24:27], 0 offen offset:1024// 000000008178: E05C1400 80866428
	v_mfma_f32_16x16x32_fp8_fp8 v[112:115], a[218:219], v[194:195], v[112:115]// 000000008180: D3F30070 0DC385DA
	v_mfma_f32_16x16x32_fp8_fp8 v[112:115], a[220:221], v[196:197], v[112:115]// 000000008188: D3F30070 0DC389DC
	v_mfma_f32_16x16x32_fp8_fp8 v[112:115], a[222:223], v[198:199], v[112:115]// 000000008190: D3F30070 0DC38DDE
	v_mfma_f32_16x16x32_fp8_fp8 v[116:119], a[208:209], v[200:201], v[116:119]// 000000008198: D3F30074 0DD391D0
	buffer_load_dwordx4 a[104:107], v40, s[24:27], 0 offen offset:2048// 0000000081A0: E05C1800 80866828
	v_mfma_f32_16x16x32_fp8_fp8 v[116:119], a[210:211], v[202:203], v[116:119]// 0000000081A8: D3F30074 0DD395D2
	v_mfma_f32_16x16x32_fp8_fp8 v[116:119], a[212:213], v[204:205], v[116:119]// 0000000081B0: D3F30074 0DD399D4
	v_mfma_f32_16x16x32_fp8_fp8 v[116:119], a[214:215], v[206:207], v[116:119]// 0000000081B8: D3F30074 0DD39DD6
	v_mfma_f32_16x16x32_fp8_fp8 v[116:119], a[216:217], v[208:209], v[116:119]// 0000000081C0: D3F30074 0DD3A1D8
	buffer_load_dwordx4 a[108:111], v40, s[24:27], 0 offen offset:3072// 0000000081C8: E05C1C00 80866C28
	v_mfma_f32_16x16x32_fp8_fp8 v[116:119], a[218:219], v[210:211], v[116:119]// 0000000081D0: D3F30074 0DD3A5DA
	v_mfma_f32_16x16x32_fp8_fp8 v[116:119], a[220:221], v[212:213], v[116:119]// 0000000081D8: D3F30074 0DD3A9DC
	v_mfma_f32_16x16x32_fp8_fp8 v[116:119], a[222:223], v[214:215], v[116:119]// 0000000081E0: D3F30074 0DD3ADDE
	s_add_u32 s60, 0x200, s80                                  // 0000000081E8: 803C50FF 00000200
	s_cmp_lt_u32 s60, s81                                      // 0000000081F0: BF0A513C
	s_cselect_b32 s57, s57, 0                                  // 0000000081F4: 85398039
	s_add_u32 s60, 0x200, s80                                  // 0000000081F8: 803C50FF 00000200
	s_cmp_lt_u32 s60, s81                                      // 000000008200: BF0A513C
	s_cselect_b32 s58, s58, 0                                  // 000000008204: 853A803A
	s_add_u32 s20, s57, s20                                    // 000000008208: 80141439
	s_addc_u32 s21, 0, s21                                     // 00000000820C: 82151580
	s_add_u32 s24, s58, s24                                    // 000000008210: 8018183A
	s_addc_u32 s25, 0, s25                                     // 000000008214: 82191980
	s_add_u32 s92, s90, s92                                    // 000000008218: 805C5C5A
	s_addc_u32 s93, 0, s93                                     // 00000000821C: 825D5D80
	s_addk_i32 s80, 0x100                                      // 000000008220: B7500100
	s_cmp_lt_i32 s80, s81                                      // 000000008224: BF045150
	s_cbranch_scc0 label_184A                                  // 000000008228: BF84027F
	s_waitcnt vmcnt(20) lgkmcnt(0)                             // 00000000822C: BF8C4074
	s_barrier                                                  // 000000008230: BF8A0000
	v_mfma_f32_16x16x32_fp8_fp8 v[128:131], a[0:1], v[216:217], v[128:131]// 000000008234: D3F30080 0E03B100
	buffer_load_dwordx4 a[112:115], v34, s[92:95], 0 offen     // 00000000823C: E05C1000 80977022
	v_mfma_f32_16x16x32_fp8_fp8 v[128:131], a[2:3], v[218:219], v[128:131]// 000000008244: D3F30080 0E03B502
	v_mfma_f32_16x16x32_fp8_fp8 v[128:131], a[4:5], v[220:221], v[128:131]// 00000000824C: D3F30080 0E03B904
	buffer_load_dword v26, s[20:23], 0 offen lds               // 000000008254: E0511000 8005001A
	s_add_u32 m0, 0x100, s50                                   // 00000000825C: 807C32FF 00000100
	v_mfma_f32_16x16x32_fp8_fp8 v[128:131], a[6:7], v[222:223], v[128:131]// 000000008264: D3F30080 0E03BD06
	v_mfma_f32_16x16x32_fp8_fp8 v[128:131], a[8:9], v[224:225], v[128:131]// 00000000826C: D3F30080 0E03C108
	buffer_load_dwordx4 a[116:119], v34, s[92:95], 0 offen offset:1024// 000000008274: E05C1400 80977422
	v_mfma_f32_16x16x32_fp8_fp8 v[128:131], a[10:11], v[226:227], v[128:131]// 00000000827C: D3F30080 0E03C50A
	v_mfma_f32_16x16x32_fp8_fp8 v[128:131], a[12:13], v[228:229], v[128:131]// 000000008284: D3F30080 0E03C90C
	buffer_load_dword v27, s[20:23], 0 offen lds               // 00000000828C: E0511000 8005001B
	s_add_u32 m0, 0x200, s50                                   // 000000008294: 807C32FF 00000200
	v_mfma_f32_16x16x32_fp8_fp8 v[128:131], a[14:15], v[230:231], v[128:131]// 00000000829C: D3F30080 0E03CD0E
	v_mfma_f32_16x16x32_fp8_fp8 v[132:135], a[0:1], v[232:233], v[132:135]// 0000000082A4: D3F30084 0E13D100
	buffer_load_dwordx4 a[120:123], v34, s[92:95], 0 offen offset:2048// 0000000082AC: E05C1800 80977822
	v_mfma_f32_16x16x32_fp8_fp8 v[132:135], a[2:3], v[234:235], v[132:135]// 0000000082B4: D3F30084 0E13D502
	v_mfma_f32_16x16x32_fp8_fp8 v[132:135], a[4:5], v[236:237], v[132:135]// 0000000082BC: D3F30084 0E13D904
	buffer_load_dword v28, s[20:23], 0 offen lds               // 0000000082C4: E0511000 8005001C
	s_add_u32 m0, 0x300, s50                                   // 0000000082CC: 807C32FF 00000300
	v_mfma_f32_16x16x32_fp8_fp8 v[132:135], a[6:7], v[238:239], v[132:135]// 0000000082D4: D3F30084 0E13DD06
	v_mfma_f32_16x16x32_fp8_fp8 v[132:135], a[8:9], v[240:241], v[132:135]// 0000000082DC: D3F30084 0E13E108
	buffer_load_dwordx4 a[124:127], v34, s[92:95], 0 offen offset:3072// 0000000082E4: E05C1C00 80977C22
	v_mfma_f32_16x16x32_fp8_fp8 v[132:135], a[10:11], v[242:243], v[132:135]// 0000000082EC: D3F30084 0E13E50A
	v_mfma_f32_16x16x32_fp8_fp8 v[132:135], a[12:13], v[244:245], v[132:135]// 0000000082F4: D3F30084 0E13E90C
	buffer_load_dword v29, s[20:23], 0 offen lds               // 0000000082FC: E0511000 8005001D
	s_add_u32 m0, 0x400, s50                                   // 000000008304: 807C32FF 00000400
	v_mfma_f32_16x16x32_fp8_fp8 v[132:135], a[14:15], v[246:247], v[132:135]// 00000000830C: D3F30084 0E13ED0E
	v_mfma_f32_16x16x32_fp8_fp8 v[136:139], a[16:17], v[216:217], v[136:139]// 000000008314: D3F30088 0E23B110
	buffer_load_dwordx4 a[128:131], v35, s[92:95], 0 offen     // 00000000831C: E05C1000 80978023
	v_mfma_f32_16x16x32_fp8_fp8 v[136:139], a[18:19], v[218:219], v[136:139]// 000000008324: D3F30088 0E23B512
	v_mfma_f32_16x16x32_fp8_fp8 v[136:139], a[20:21], v[220:221], v[136:139]// 00000000832C: D3F30088 0E23B914
	buffer_load_dword v30, s[20:23], 0 offen lds               // 000000008334: E0511000 8005001E
	s_add_u32 m0, 0x500, s50                                   // 00000000833C: 807C32FF 00000500
	v_mfma_f32_16x16x32_fp8_fp8 v[136:139], a[22:23], v[222:223], v[136:139]// 000000008344: D3F30088 0E23BD16
	v_mfma_f32_16x16x32_fp8_fp8 v[136:139], a[24:25], v[224:225], v[136:139]// 00000000834C: D3F30088 0E23C118
	buffer_load_dwordx4 a[132:135], v35, s[92:95], 0 offen offset:1024// 000000008354: E05C1400 80978423
	v_mfma_f32_16x16x32_fp8_fp8 v[136:139], a[26:27], v[226:227], v[136:139]// 00000000835C: D3F30088 0E23C51A
	v_mfma_f32_16x16x32_fp8_fp8 v[136:139], a[28:29], v[228:229], v[136:139]// 000000008364: D3F30088 0E23C91C
	buffer_load_dword v31, s[20:23], 0 offen lds               // 00000000836C: E0511000 8005001F
	s_add_u32 m0, 0x600, s50                                   // 000000008374: 807C32FF 00000600
	v_mfma_f32_16x16x32_fp8_fp8 v[136:139], a[30:31], v[230:231], v[136:139]// 00000000837C: D3F30088 0E23CD1E
	v_mfma_f32_16x16x32_fp8_fp8 v[140:143], a[16:17], v[232:233], v[140:143]// 000000008384: D3F3008C 0E33D110
	buffer_load_dwordx4 a[136:139], v35, s[92:95], 0 offen offset:2048// 00000000838C: E05C1800 80978823
	v_mfma_f32_16x16x32_fp8_fp8 v[140:143], a[18:19], v[234:235], v[140:143]// 000000008394: D3F3008C 0E33D512
	v_mfma_f32_16x16x32_fp8_fp8 v[140:143], a[20:21], v[236:237], v[140:143]// 00000000839C: D3F3008C 0E33D914
	buffer_load_dword v32, s[20:23], 0 offen lds               // 0000000083A4: E0511000 80050020
	s_add_u32 m0, 0x700, s50                                   // 0000000083AC: 807C32FF 00000700
	v_mfma_f32_16x16x32_fp8_fp8 v[140:143], a[22:23], v[238:239], v[140:143]// 0000000083B4: D3F3008C 0E33DD16
	v_mfma_f32_16x16x32_fp8_fp8 v[140:143], a[24:25], v[240:241], v[140:143]// 0000000083BC: D3F3008C 0E33E118
	buffer_load_dwordx4 a[140:143], v35, s[92:95], 0 offen offset:3072// 0000000083C4: E05C1C00 80978C23
	v_mfma_f32_16x16x32_fp8_fp8 v[140:143], a[26:27], v[242:243], v[140:143]// 0000000083CC: D3F3008C 0E33E51A
	v_mfma_f32_16x16x32_fp8_fp8 v[140:143], a[28:29], v[244:245], v[140:143]// 0000000083D4: D3F3008C 0E33E91C
	buffer_load_dword v33, s[20:23], 0 offen lds               // 0000000083DC: E0511000 80050021
	s_add_u32 m0, 0, s51                                       // 0000000083E4: 807C3380
	v_mfma_f32_16x16x32_fp8_fp8 v[140:143], a[30:31], v[246:247], v[140:143]// 0000000083E8: D3F3008C 0E33ED1E
	s_waitcnt vmcnt(32)                                        // 0000000083F0: BF8C8F70
	v_mfma_f32_16x16x32_fp8_fp8 v[144:147], a[32:33], v[216:217], v[144:147]// 0000000083F4: D3F30090 0E43B120
	buffer_load_dwordx4 a[144:147], v36, s[92:95], 0 offen     // 0000000083FC: E05C1000 80979024
	v_mfma_f32_16x16x32_fp8_fp8 v[144:147], a[34:35], v[218:219], v[144:147]// 000000008404: D3F30090 0E43B522
	v_mfma_f32_16x16x32_fp8_fp8 v[144:147], a[36:37], v[220:221], v[144:147]// 00000000840C: D3F30090 0E43B924
	v_mfma_f32_16x16x32_fp8_fp8 v[144:147], a[38:39], v[222:223], v[144:147]// 000000008414: D3F30090 0E43BD26
	v_mfma_f32_16x16x32_fp8_fp8 v[144:147], a[40:41], v[224:225], v[144:147]// 00000000841C: D3F30090 0E43C128
	buffer_load_dwordx4 a[148:151], v36, s[92:95], 0 offen offset:1024// 000000008424: E05C1400 80979424
	v_mfma_f32_16x16x32_fp8_fp8 v[144:147], a[42:43], v[226:227], v[144:147]// 00000000842C: D3F30090 0E43C52A
	v_mfma_f32_16x16x32_fp8_fp8 v[144:147], a[44:45], v[228:229], v[144:147]// 000000008434: D3F30090 0E43C92C
	v_mfma_f32_16x16x32_fp8_fp8 v[144:147], a[46:47], v[230:231], v[144:147]// 00000000843C: D3F30090 0E43CD2E
	v_mfma_f32_16x16x32_fp8_fp8 v[148:151], a[32:33], v[232:233], v[148:151]// 000000008444: D3F30094 0E53D120
	buffer_load_dwordx4 a[152:155], v36, s[92:95], 0 offen offset:2048// 00000000844C: E05C1800 80979824
	v_mfma_f32_16x16x32_fp8_fp8 v[148:151], a[34:35], v[234:235], v[148:151]// 000000008454: D3F30094 0E53D522
	v_mfma_f32_16x16x32_fp8_fp8 v[148:151], a[36:37], v[236:237], v[148:151]// 00000000845C: D3F30094 0E53D924
	v_mfma_f32_16x16x32_fp8_fp8 v[148:151], a[38:39], v[238:239], v[148:151]// 000000008464: D3F30094 0E53DD26
	v_mfma_f32_16x16x32_fp8_fp8 v[148:151], a[40:41], v[240:241], v[148:151]// 00000000846C: D3F30094 0E53E128
	buffer_load_dwordx4 a[156:159], v36, s[92:95], 0 offen offset:3072// 000000008474: E05C1C00 80979C24
	v_mfma_f32_16x16x32_fp8_fp8 v[148:151], a[42:43], v[242:243], v[148:151]// 00000000847C: D3F30094 0E53E52A
	v_mfma_f32_16x16x32_fp8_fp8 v[148:151], a[44:45], v[244:245], v[148:151]// 000000008484: D3F30094 0E53E92C
	v_mfma_f32_16x16x32_fp8_fp8 v[148:151], a[46:47], v[246:247], v[148:151]// 00000000848C: D3F30094 0E53ED2E
	s_waitcnt vmcnt(32)                                        // 000000008494: BF8C8F70
	v_mfma_f32_16x16x32_fp8_fp8 v[152:155], a[48:49], v[216:217], v[152:155]// 000000008498: D3F30098 0E63B130
	buffer_load_dwordx4 a[160:163], v37, s[92:95], 0 offen     // 0000000084A0: E05C1000 8097A025
	v_mfma_f32_16x16x32_fp8_fp8 v[152:155], a[50:51], v[218:219], v[152:155]// 0000000084A8: D3F30098 0E63B532
	v_mfma_f32_16x16x32_fp8_fp8 v[152:155], a[52:53], v[220:221], v[152:155]// 0000000084B0: D3F30098 0E63B934
	v_mfma_f32_16x16x32_fp8_fp8 v[152:155], a[54:55], v[222:223], v[152:155]// 0000000084B8: D3F30098 0E63BD36
	v_mfma_f32_16x16x32_fp8_fp8 v[152:155], a[56:57], v[224:225], v[152:155]// 0000000084C0: D3F30098 0E63C138
	buffer_load_dwordx4 a[164:167], v37, s[92:95], 0 offen offset:1024// 0000000084C8: E05C1400 8097A425
	v_mfma_f32_16x16x32_fp8_fp8 v[152:155], a[58:59], v[226:227], v[152:155]// 0000000084D0: D3F30098 0E63C53A
	v_mfma_f32_16x16x32_fp8_fp8 v[152:155], a[60:61], v[228:229], v[152:155]// 0000000084D8: D3F30098 0E63C93C
	v_mfma_f32_16x16x32_fp8_fp8 v[152:155], a[62:63], v[230:231], v[152:155]// 0000000084E0: D3F30098 0E63CD3E
	v_mfma_f32_16x16x32_fp8_fp8 v[156:159], a[48:49], v[232:233], v[156:159]// 0000000084E8: D3F3009C 0E73D130
	buffer_load_dwordx4 a[168:171], v37, s[92:95], 0 offen offset:2048// 0000000084F0: E05C1800 8097A825
	v_mfma_f32_16x16x32_fp8_fp8 v[156:159], a[50:51], v[234:235], v[156:159]// 0000000084F8: D3F3009C 0E73D532
	v_mfma_f32_16x16x32_fp8_fp8 v[156:159], a[52:53], v[236:237], v[156:159]// 000000008500: D3F3009C 0E73D934
	v_mfma_f32_16x16x32_fp8_fp8 v[156:159], a[54:55], v[238:239], v[156:159]// 000000008508: D3F3009C 0E73DD36
	v_mfma_f32_16x16x32_fp8_fp8 v[156:159], a[56:57], v[240:241], v[156:159]// 000000008510: D3F3009C 0E73E138
	buffer_load_dwordx4 a[172:175], v37, s[92:95], 0 offen offset:3072// 000000008518: E05C1C00 8097AC25
	v_mfma_f32_16x16x32_fp8_fp8 v[156:159], a[58:59], v[242:243], v[156:159]// 000000008520: D3F3009C 0E73E53A
	v_mfma_f32_16x16x32_fp8_fp8 v[156:159], a[60:61], v[244:245], v[156:159]// 000000008528: D3F3009C 0E73E93C
	v_mfma_f32_16x16x32_fp8_fp8 v[156:159], a[62:63], v[246:247], v[156:159]// 000000008530: D3F3009C 0E73ED3E
	s_waitcnt vmcnt(32)                                        // 000000008538: BF8C8F70
	v_mfma_f32_16x16x32_fp8_fp8 v[160:163], a[64:65], v[216:217], v[160:163]// 00000000853C: D3F300A0 0E83B140
	buffer_load_dwordx4 a[176:179], v38, s[92:95], 0 offen     // 000000008544: E05C1000 8097B026
	v_mfma_f32_16x16x32_fp8_fp8 v[160:163], a[66:67], v[218:219], v[160:163]// 00000000854C: D3F300A0 0E83B542
	v_mfma_f32_16x16x32_fp8_fp8 v[160:163], a[68:69], v[220:221], v[160:163]// 000000008554: D3F300A0 0E83B944
	v_mfma_f32_16x16x32_fp8_fp8 v[160:163], a[70:71], v[222:223], v[160:163]// 00000000855C: D3F300A0 0E83BD46
	v_mfma_f32_16x16x32_fp8_fp8 v[160:163], a[72:73], v[224:225], v[160:163]// 000000008564: D3F300A0 0E83C148
	buffer_load_dwordx4 a[180:183], v38, s[92:95], 0 offen offset:1024// 00000000856C: E05C1400 8097B426
	v_mfma_f32_16x16x32_fp8_fp8 v[160:163], a[74:75], v[226:227], v[160:163]// 000000008574: D3F300A0 0E83C54A
	v_mfma_f32_16x16x32_fp8_fp8 v[160:163], a[76:77], v[228:229], v[160:163]// 00000000857C: D3F300A0 0E83C94C
	v_mfma_f32_16x16x32_fp8_fp8 v[160:163], a[78:79], v[230:231], v[160:163]// 000000008584: D3F300A0 0E83CD4E
	v_mfma_f32_16x16x32_fp8_fp8 v[164:167], a[64:65], v[232:233], v[164:167]// 00000000858C: D3F300A4 0E93D140
	buffer_load_dwordx4 a[184:187], v38, s[92:95], 0 offen offset:2048// 000000008594: E05C1800 8097B826
	v_mfma_f32_16x16x32_fp8_fp8 v[164:167], a[66:67], v[234:235], v[164:167]// 00000000859C: D3F300A4 0E93D542
	v_mfma_f32_16x16x32_fp8_fp8 v[164:167], a[68:69], v[236:237], v[164:167]// 0000000085A4: D3F300A4 0E93D944
	v_mfma_f32_16x16x32_fp8_fp8 v[164:167], a[70:71], v[238:239], v[164:167]// 0000000085AC: D3F300A4 0E93DD46
	v_mfma_f32_16x16x32_fp8_fp8 v[164:167], a[72:73], v[240:241], v[164:167]// 0000000085B4: D3F300A4 0E93E148
	buffer_load_dwordx4 a[188:191], v38, s[92:95], 0 offen offset:3072// 0000000085BC: E05C1C00 8097BC26
	v_mfma_f32_16x16x32_fp8_fp8 v[164:167], a[74:75], v[242:243], v[164:167]// 0000000085C4: D3F300A4 0E93E54A
	v_mfma_f32_16x16x32_fp8_fp8 v[164:167], a[76:77], v[244:245], v[164:167]// 0000000085CC: D3F300A4 0E93E94C
	v_mfma_f32_16x16x32_fp8_fp8 v[164:167], a[78:79], v[246:247], v[164:167]// 0000000085D4: D3F300A4 0E93ED4E
	s_waitcnt vmcnt(32)                                        // 0000000085DC: BF8C8F70
	v_mfma_f32_16x16x32_fp8_fp8 v[168:171], a[80:81], v[216:217], v[168:171]// 0000000085E0: D3F300A8 0EA3B150
	buffer_load_dwordx4 a[192:195], v39, s[92:95], 0 offen     // 0000000085E8: E05C1000 8097C027
	v_mfma_f32_16x16x32_fp8_fp8 v[168:171], a[82:83], v[218:219], v[168:171]// 0000000085F0: D3F300A8 0EA3B552
	v_mfma_f32_16x16x32_fp8_fp8 v[168:171], a[84:85], v[220:221], v[168:171]// 0000000085F8: D3F300A8 0EA3B954
	v_mfma_f32_16x16x32_fp8_fp8 v[168:171], a[86:87], v[222:223], v[168:171]// 000000008600: D3F300A8 0EA3BD56
	v_mfma_f32_16x16x32_fp8_fp8 v[168:171], a[88:89], v[224:225], v[168:171]// 000000008608: D3F300A8 0EA3C158
	buffer_load_dwordx4 a[196:199], v39, s[92:95], 0 offen offset:1024// 000000008610: E05C1400 8097C427
	v_mfma_f32_16x16x32_fp8_fp8 v[168:171], a[90:91], v[226:227], v[168:171]// 000000008618: D3F300A8 0EA3C55A
	v_mfma_f32_16x16x32_fp8_fp8 v[168:171], a[92:93], v[228:229], v[168:171]// 000000008620: D3F300A8 0EA3C95C
	v_mfma_f32_16x16x32_fp8_fp8 v[168:171], a[94:95], v[230:231], v[168:171]// 000000008628: D3F300A8 0EA3CD5E
	v_mfma_f32_16x16x32_fp8_fp8 v[172:175], a[80:81], v[232:233], v[172:175]// 000000008630: D3F300AC 0EB3D150
	buffer_load_dwordx4 a[200:203], v39, s[92:95], 0 offen offset:2048// 000000008638: E05C1800 8097C827
	v_mfma_f32_16x16x32_fp8_fp8 v[172:175], a[82:83], v[234:235], v[172:175]// 000000008640: D3F300AC 0EB3D552
	v_mfma_f32_16x16x32_fp8_fp8 v[172:175], a[84:85], v[236:237], v[172:175]// 000000008648: D3F300AC 0EB3D954
	v_mfma_f32_16x16x32_fp8_fp8 v[172:175], a[86:87], v[238:239], v[172:175]// 000000008650: D3F300AC 0EB3DD56
	v_mfma_f32_16x16x32_fp8_fp8 v[172:175], a[88:89], v[240:241], v[172:175]// 000000008658: D3F300AC 0EB3E158
	buffer_load_dwordx4 a[204:207], v39, s[92:95], 0 offen offset:3072// 000000008660: E05C1C00 8097CC27
	v_mfma_f32_16x16x32_fp8_fp8 v[172:175], a[90:91], v[242:243], v[172:175]// 000000008668: D3F300AC 0EB3E55A
	v_mfma_f32_16x16x32_fp8_fp8 v[172:175], a[92:93], v[244:245], v[172:175]// 000000008670: D3F300AC 0EB3E95C
	v_mfma_f32_16x16x32_fp8_fp8 v[172:175], a[94:95], v[246:247], v[172:175]// 000000008678: D3F300AC 0EB3ED5E
	s_waitcnt vmcnt(32)                                        // 000000008680: BF8C8F70
	v_mfma_f32_16x16x32_fp8_fp8 v[176:179], a[96:97], v[216:217], v[176:179]// 000000008684: D3F300B0 0EC3B160
	buffer_load_dwordx4 a[208:211], v40, s[92:95], 0 offen     // 00000000868C: E05C1000 8097D028
	v_mfma_f32_16x16x32_fp8_fp8 v[176:179], a[98:99], v[218:219], v[176:179]// 000000008694: D3F300B0 0EC3B562
	v_mfma_f32_16x16x32_fp8_fp8 v[176:179], a[100:101], v[220:221], v[176:179]// 00000000869C: D3F300B0 0EC3B964
	v_mfma_f32_16x16x32_fp8_fp8 v[176:179], a[102:103], v[222:223], v[176:179]// 0000000086A4: D3F300B0 0EC3BD66
	v_mfma_f32_16x16x32_fp8_fp8 v[176:179], a[104:105], v[224:225], v[176:179]// 0000000086AC: D3F300B0 0EC3C168
	buffer_load_dwordx4 a[212:215], v40, s[92:95], 0 offen offset:1024// 0000000086B4: E05C1400 8097D428
	v_mfma_f32_16x16x32_fp8_fp8 v[176:179], a[106:107], v[226:227], v[176:179]// 0000000086BC: D3F300B0 0EC3C56A
	v_mfma_f32_16x16x32_fp8_fp8 v[176:179], a[108:109], v[228:229], v[176:179]// 0000000086C4: D3F300B0 0EC3C96C
	v_mfma_f32_16x16x32_fp8_fp8 v[176:179], a[110:111], v[230:231], v[176:179]// 0000000086CC: D3F300B0 0EC3CD6E
	v_mfma_f32_16x16x32_fp8_fp8 v[180:183], a[96:97], v[232:233], v[180:183]// 0000000086D4: D3F300B4 0ED3D160
	buffer_load_dwordx4 a[216:219], v40, s[92:95], 0 offen offset:2048// 0000000086DC: E05C1800 8097D828
	v_mfma_f32_16x16x32_fp8_fp8 v[180:183], a[98:99], v[234:235], v[180:183]// 0000000086E4: D3F300B4 0ED3D562
	v_mfma_f32_16x16x32_fp8_fp8 v[180:183], a[100:101], v[236:237], v[180:183]// 0000000086EC: D3F300B4 0ED3D964
	v_mfma_f32_16x16x32_fp8_fp8 v[180:183], a[102:103], v[238:239], v[180:183]// 0000000086F4: D3F300B4 0ED3DD66
	v_mfma_f32_16x16x32_fp8_fp8 v[180:183], a[104:105], v[240:241], v[180:183]// 0000000086FC: D3F300B4 0ED3E168
	buffer_load_dwordx4 a[220:223], v40, s[92:95], 0 offen offset:3072// 000000008704: E05C1C00 8097DC28
	v_mfma_f32_16x16x32_fp8_fp8 v[180:183], a[106:107], v[242:243], v[180:183]// 00000000870C: D3F300B4 0ED3E56A
	v_mfma_f32_16x16x32_fp8_fp8 v[180:183], a[108:109], v[244:245], v[180:183]// 000000008714: D3F300B4 0ED3E96C
	v_mfma_f32_16x16x32_fp8_fp8 v[180:183], a[110:111], v[246:247], v[180:183]// 00000000871C: D3F300B4 0ED3ED6E
	s_waitcnt vmcnt(20)                                        // 000000008724: BF8C4F74
	s_barrier                                                  // 000000008728: BF8A0000
	v_mfma_f32_16x16x32_fp8_fp8 v[64:67], a[112:113], v[216:217], v[64:67]// 00000000872C: D3F30040 0D03B170
	buffer_load_dwordx4 a[0:3], v34, s[24:27], 0 offen         // 000000008734: E05C1000 80860022
	v_mfma_f32_16x16x32_fp8_fp8 v[64:67], a[114:115], v[218:219], v[64:67]// 00000000873C: D3F30040 0D03B572
	v_mfma_f32_16x16x32_fp8_fp8 v[64:67], a[116:117], v[220:221], v[64:67]// 000000008744: D3F30040 0D03B974
	v_mfma_f32_16x16x32_fp8_fp8 v[64:67], a[118:119], v[222:223], v[64:67]// 00000000874C: D3F30040 0D03BD76
	v_mfma_f32_16x16x32_fp8_fp8 v[64:67], a[120:121], v[224:225], v[64:67]// 000000008754: D3F30040 0D03C178
	buffer_load_dwordx4 a[4:7], v34, s[24:27], 0 offen offset:1024// 00000000875C: E05C1400 80860422
	v_mfma_f32_16x16x32_fp8_fp8 v[64:67], a[122:123], v[226:227], v[64:67]// 000000008764: D3F30040 0D03C57A
	v_mfma_f32_16x16x32_fp8_fp8 v[64:67], a[124:125], v[228:229], v[64:67]// 00000000876C: D3F30040 0D03C97C
	v_mfma_f32_16x16x32_fp8_fp8 v[64:67], a[126:127], v[230:231], v[64:67]// 000000008774: D3F30040 0D03CD7E
	v_mfma_f32_16x16x32_fp8_fp8 v[68:71], a[112:113], v[232:233], v[68:71]// 00000000877C: D3F30044 0D13D170
	buffer_load_dwordx4 a[8:11], v34, s[24:27], 0 offen offset:2048// 000000008784: E05C1800 80860822
	v_mfma_f32_16x16x32_fp8_fp8 v[68:71], a[114:115], v[234:235], v[68:71]// 00000000878C: D3F30044 0D13D572
	v_mfma_f32_16x16x32_fp8_fp8 v[68:71], a[116:117], v[236:237], v[68:71]// 000000008794: D3F30044 0D13D974
	v_mfma_f32_16x16x32_fp8_fp8 v[68:71], a[118:119], v[238:239], v[68:71]// 00000000879C: D3F30044 0D13DD76
	v_mfma_f32_16x16x32_fp8_fp8 v[68:71], a[120:121], v[240:241], v[68:71]// 0000000087A4: D3F30044 0D13E178
	buffer_load_dwordx4 a[12:15], v34, s[24:27], 0 offen offset:3072// 0000000087AC: E05C1C00 80860C22
	v_mfma_f32_16x16x32_fp8_fp8 v[68:71], a[122:123], v[242:243], v[68:71]// 0000000087B4: D3F30044 0D13E57A
	v_mfma_f32_16x16x32_fp8_fp8 v[68:71], a[124:125], v[244:245], v[68:71]// 0000000087BC: D3F30044 0D13E97C
	v_mfma_f32_16x16x32_fp8_fp8 v[68:71], a[126:127], v[246:247], v[68:71]// 0000000087C4: D3F30044 0D13ED7E
	v_mfma_f32_16x16x32_fp8_fp8 v[72:75], a[128:129], v[216:217], v[72:75]// 0000000087CC: D3F30048 0D23B180
	buffer_load_dwordx4 a[16:19], v35, s[24:27], 0 offen       // 0000000087D4: E05C1000 80861023
	v_mfma_f32_16x16x32_fp8_fp8 v[72:75], a[130:131], v[218:219], v[72:75]// 0000000087DC: D3F30048 0D23B582
	v_mfma_f32_16x16x32_fp8_fp8 v[72:75], a[132:133], v[220:221], v[72:75]// 0000000087E4: D3F30048 0D23B984
	v_mfma_f32_16x16x32_fp8_fp8 v[72:75], a[134:135], v[222:223], v[72:75]// 0000000087EC: D3F30048 0D23BD86
	v_mfma_f32_16x16x32_fp8_fp8 v[72:75], a[136:137], v[224:225], v[72:75]// 0000000087F4: D3F30048 0D23C188
	buffer_load_dwordx4 a[20:23], v35, s[24:27], 0 offen offset:1024// 0000000087FC: E05C1400 80861423
	v_mfma_f32_16x16x32_fp8_fp8 v[72:75], a[138:139], v[226:227], v[72:75]// 000000008804: D3F30048 0D23C58A
	v_mfma_f32_16x16x32_fp8_fp8 v[72:75], a[140:141], v[228:229], v[72:75]// 00000000880C: D3F30048 0D23C98C
	v_mfma_f32_16x16x32_fp8_fp8 v[72:75], a[142:143], v[230:231], v[72:75]// 000000008814: D3F30048 0D23CD8E
	v_mfma_f32_16x16x32_fp8_fp8 v[76:79], a[128:129], v[232:233], v[76:79]// 00000000881C: D3F3004C 0D33D180
	buffer_load_dwordx4 a[24:27], v35, s[24:27], 0 offen offset:2048// 000000008824: E05C1800 80861823
	v_mfma_f32_16x16x32_fp8_fp8 v[76:79], a[130:131], v[234:235], v[76:79]// 00000000882C: D3F3004C 0D33D582
	v_mfma_f32_16x16x32_fp8_fp8 v[76:79], a[132:133], v[236:237], v[76:79]// 000000008834: D3F3004C 0D33D984
	v_mfma_f32_16x16x32_fp8_fp8 v[76:79], a[134:135], v[238:239], v[76:79]// 00000000883C: D3F3004C 0D33DD86
	v_mfma_f32_16x16x32_fp8_fp8 v[76:79], a[136:137], v[240:241], v[76:79]// 000000008844: D3F3004C 0D33E188
	buffer_load_dwordx4 a[28:31], v35, s[24:27], 0 offen offset:3072// 00000000884C: E05C1C00 80861C23
	v_mfma_f32_16x16x32_fp8_fp8 v[76:79], a[138:139], v[242:243], v[76:79]// 000000008854: D3F3004C 0D33E58A
	v_mfma_f32_16x16x32_fp8_fp8 v[76:79], a[140:141], v[244:245], v[76:79]// 00000000885C: D3F3004C 0D33E98C
	v_mfma_f32_16x16x32_fp8_fp8 v[76:79], a[142:143], v[246:247], v[76:79]// 000000008864: D3F3004C 0D33ED8E
	s_waitcnt vmcnt(24)                                        // 00000000886C: BF8C4F78
	v_mfma_f32_16x16x32_fp8_fp8 v[80:83], a[144:145], v[216:217], v[80:83]// 000000008870: D3F30050 0D43B190
	buffer_load_dwordx4 a[32:35], v36, s[24:27], 0 offen       // 000000008878: E05C1000 80862024
	v_mfma_f32_16x16x32_fp8_fp8 v[80:83], a[146:147], v[218:219], v[80:83]// 000000008880: D3F30050 0D43B592
	v_mfma_f32_16x16x32_fp8_fp8 v[80:83], a[148:149], v[220:221], v[80:83]// 000000008888: D3F30050 0D43B994
	ds_read_b128 v[184:187], v2                                // 000000008890: D9FE0000 B8000002
	v_mfma_f32_16x16x32_fp8_fp8 v[80:83], a[150:151], v[222:223], v[80:83]// 000000008898: D3F30050 0D43BD96
	v_mfma_f32_16x16x32_fp8_fp8 v[80:83], a[152:153], v[224:225], v[80:83]// 0000000088A0: D3F30050 0D43C198
	buffer_load_dwordx4 a[36:39], v36, s[24:27], 0 offen offset:1024// 0000000088A8: E05C1400 80862424
	v_mfma_f32_16x16x32_fp8_fp8 v[80:83], a[154:155], v[226:227], v[80:83]// 0000000088B0: D3F30050 0D43C59A
	v_mfma_f32_16x16x32_fp8_fp8 v[80:83], a[156:157], v[228:229], v[80:83]// 0000000088B8: D3F30050 0D43C99C
	ds_read_b128 v[188:191], v2 offset:64                      // 0000000088C0: D9FE0040 BC000002
	v_mfma_f32_16x16x32_fp8_fp8 v[80:83], a[158:159], v[230:231], v[80:83]// 0000000088C8: D3F30050 0D43CD9E
	v_mfma_f32_16x16x32_fp8_fp8 v[84:87], a[144:145], v[232:233], v[84:87]// 0000000088D0: D3F30054 0D53D190
	buffer_load_dwordx4 a[40:43], v36, s[24:27], 0 offen offset:2048// 0000000088D8: E05C1800 80862824
	v_mfma_f32_16x16x32_fp8_fp8 v[84:87], a[146:147], v[234:235], v[84:87]// 0000000088E0: D3F30054 0D53D592
	v_mfma_f32_16x16x32_fp8_fp8 v[84:87], a[148:149], v[236:237], v[84:87]// 0000000088E8: D3F30054 0D53D994
	ds_read_b128 v[192:195], v2 offset:128                     // 0000000088F0: D9FE0080 C0000002
	v_mfma_f32_16x16x32_fp8_fp8 v[84:87], a[150:151], v[238:239], v[84:87]// 0000000088F8: D3F30054 0D53DD96
	v_mfma_f32_16x16x32_fp8_fp8 v[84:87], a[152:153], v[240:241], v[84:87]// 000000008900: D3F30054 0D53E198
	buffer_load_dwordx4 a[44:47], v36, s[24:27], 0 offen offset:3072// 000000008908: E05C1C00 80862C24
	v_mfma_f32_16x16x32_fp8_fp8 v[84:87], a[154:155], v[242:243], v[84:87]// 000000008910: D3F30054 0D53E59A
	v_mfma_f32_16x16x32_fp8_fp8 v[84:87], a[156:157], v[244:245], v[84:87]// 000000008918: D3F30054 0D53E99C
	ds_read_b128 v[196:199], v2 offset:192                     // 000000008920: D9FE00C0 C4000002
	v_mfma_f32_16x16x32_fp8_fp8 v[84:87], a[158:159], v[246:247], v[84:87]// 000000008928: D3F30054 0D53ED9E
	s_waitcnt vmcnt(24)                                        // 000000008930: BF8C4F78
	v_mfma_f32_16x16x32_fp8_fp8 v[88:91], a[160:161], v[216:217], v[88:91]// 000000008934: D3F30058 0D63B1A0
	buffer_load_dwordx4 a[48:51], v37, s[24:27], 0 offen       // 00000000893C: E05C1000 80863025
	v_mfma_f32_16x16x32_fp8_fp8 v[88:91], a[162:163], v[218:219], v[88:91]// 000000008944: D3F30058 0D63B5A2
	v_mfma_f32_16x16x32_fp8_fp8 v[88:91], a[164:165], v[220:221], v[88:91]// 00000000894C: D3F30058 0D63B9A4
	ds_read_b128 v[200:203], v2 offset:1024                    // 000000008954: D9FE0400 C8000002
	v_mfma_f32_16x16x32_fp8_fp8 v[88:91], a[166:167], v[222:223], v[88:91]// 00000000895C: D3F30058 0D63BDA6
	v_mfma_f32_16x16x32_fp8_fp8 v[88:91], a[168:169], v[224:225], v[88:91]// 000000008964: D3F30058 0D63C1A8
	buffer_load_dwordx4 a[52:55], v37, s[24:27], 0 offen offset:1024// 00000000896C: E05C1400 80863425
	v_mfma_f32_16x16x32_fp8_fp8 v[88:91], a[170:171], v[226:227], v[88:91]// 000000008974: D3F30058 0D63C5AA
	v_mfma_f32_16x16x32_fp8_fp8 v[88:91], a[172:173], v[228:229], v[88:91]// 00000000897C: D3F30058 0D63C9AC
	ds_read_b128 v[204:207], v2 offset:1088                    // 000000008984: D9FE0440 CC000002
	v_mfma_f32_16x16x32_fp8_fp8 v[88:91], a[174:175], v[230:231], v[88:91]// 00000000898C: D3F30058 0D63CDAE
	v_mfma_f32_16x16x32_fp8_fp8 v[92:95], a[160:161], v[232:233], v[92:95]// 000000008994: D3F3005C 0D73D1A0
	buffer_load_dwordx4 a[56:59], v37, s[24:27], 0 offen offset:2048// 00000000899C: E05C1800 80863825
	v_mfma_f32_16x16x32_fp8_fp8 v[92:95], a[162:163], v[234:235], v[92:95]// 0000000089A4: D3F3005C 0D73D5A2
	v_mfma_f32_16x16x32_fp8_fp8 v[92:95], a[164:165], v[236:237], v[92:95]// 0000000089AC: D3F3005C 0D73D9A4
	ds_read_b128 v[208:211], v2 offset:1152                    // 0000000089B4: D9FE0480 D0000002
	v_mfma_f32_16x16x32_fp8_fp8 v[92:95], a[166:167], v[238:239], v[92:95]// 0000000089BC: D3F3005C 0D73DDA6
	v_mfma_f32_16x16x32_fp8_fp8 v[92:95], a[168:169], v[240:241], v[92:95]// 0000000089C4: D3F3005C 0D73E1A8
	buffer_load_dwordx4 a[60:63], v37, s[24:27], 0 offen offset:3072// 0000000089CC: E05C1C00 80863C25
	v_mfma_f32_16x16x32_fp8_fp8 v[92:95], a[170:171], v[242:243], v[92:95]// 0000000089D4: D3F3005C 0D73E5AA
	v_mfma_f32_16x16x32_fp8_fp8 v[92:95], a[172:173], v[244:245], v[92:95]// 0000000089DC: D3F3005C 0D73E9AC
	ds_read_b128 v[212:215], v2 offset:1216                    // 0000000089E4: D9FE04C0 D4000002
	v_mfma_f32_16x16x32_fp8_fp8 v[92:95], a[174:175], v[246:247], v[92:95]// 0000000089EC: D3F3005C 0D73EDAE
	s_waitcnt vmcnt(24)                                        // 0000000089F4: BF8C4F78
	v_mfma_f32_16x16x32_fp8_fp8 v[96:99], a[176:177], v[216:217], v[96:99]// 0000000089F8: D3F30060 0D83B1B0
	buffer_load_dwordx4 a[64:67], v38, s[24:27], 0 offen       // 000000008A00: E05C1000 80864026
	v_mfma_f32_16x16x32_fp8_fp8 v[96:99], a[178:179], v[218:219], v[96:99]// 000000008A08: D3F30060 0D83B5B2
	v_mfma_f32_16x16x32_fp8_fp8 v[96:99], a[180:181], v[220:221], v[96:99]// 000000008A10: D3F30060 0D83B9B4
	v_mfma_f32_16x16x32_fp8_fp8 v[96:99], a[182:183], v[222:223], v[96:99]// 000000008A18: D3F30060 0D83BDB6
	v_mfma_f32_16x16x32_fp8_fp8 v[96:99], a[184:185], v[224:225], v[96:99]// 000000008A20: D3F30060 0D83C1B8
	buffer_load_dwordx4 a[68:71], v38, s[24:27], 0 offen offset:1024// 000000008A28: E05C1400 80864426
	v_mfma_f32_16x16x32_fp8_fp8 v[96:99], a[186:187], v[226:227], v[96:99]// 000000008A30: D3F30060 0D83C5BA
	v_mfma_f32_16x16x32_fp8_fp8 v[96:99], a[188:189], v[228:229], v[96:99]// 000000008A38: D3F30060 0D83C9BC
	v_mfma_f32_16x16x32_fp8_fp8 v[96:99], a[190:191], v[230:231], v[96:99]// 000000008A40: D3F30060 0D83CDBE
	v_mfma_f32_16x16x32_fp8_fp8 v[100:103], a[176:177], v[232:233], v[100:103]// 000000008A48: D3F30064 0D93D1B0
	buffer_load_dwordx4 a[72:75], v38, s[24:27], 0 offen offset:2048// 000000008A50: E05C1800 80864826
	v_mfma_f32_16x16x32_fp8_fp8 v[100:103], a[178:179], v[234:235], v[100:103]// 000000008A58: D3F30064 0D93D5B2
	v_mfma_f32_16x16x32_fp8_fp8 v[100:103], a[180:181], v[236:237], v[100:103]// 000000008A60: D3F30064 0D93D9B4
	v_mfma_f32_16x16x32_fp8_fp8 v[100:103], a[182:183], v[238:239], v[100:103]// 000000008A68: D3F30064 0D93DDB6
	v_mfma_f32_16x16x32_fp8_fp8 v[100:103], a[184:185], v[240:241], v[100:103]// 000000008A70: D3F30064 0D93E1B8
	buffer_load_dwordx4 a[76:79], v38, s[24:27], 0 offen offset:3072// 000000008A78: E05C1C00 80864C26
	v_mfma_f32_16x16x32_fp8_fp8 v[100:103], a[186:187], v[242:243], v[100:103]// 000000008A80: D3F30064 0D93E5BA
	v_mfma_f32_16x16x32_fp8_fp8 v[100:103], a[188:189], v[244:245], v[100:103]// 000000008A88: D3F30064 0D93E9BC
	v_mfma_f32_16x16x32_fp8_fp8 v[100:103], a[190:191], v[246:247], v[100:103]// 000000008A90: D3F30064 0D93EDBE
	s_waitcnt vmcnt(24)                                        // 000000008A98: BF8C4F78
	v_mfma_f32_16x16x32_fp8_fp8 v[104:107], a[192:193], v[216:217], v[104:107]// 000000008A9C: D3F30068 0DA3B1C0
	buffer_load_dwordx4 a[80:83], v39, s[24:27], 0 offen       // 000000008AA4: E05C1000 80865027
	v_mfma_f32_16x16x32_fp8_fp8 v[104:107], a[194:195], v[218:219], v[104:107]// 000000008AAC: D3F30068 0DA3B5C2
	v_mfma_f32_16x16x32_fp8_fp8 v[104:107], a[196:197], v[220:221], v[104:107]// 000000008AB4: D3F30068 0DA3B9C4
	v_mfma_f32_16x16x32_fp8_fp8 v[104:107], a[198:199], v[222:223], v[104:107]// 000000008ABC: D3F30068 0DA3BDC6
	v_mfma_f32_16x16x32_fp8_fp8 v[104:107], a[200:201], v[224:225], v[104:107]// 000000008AC4: D3F30068 0DA3C1C8
	buffer_load_dwordx4 a[84:87], v39, s[24:27], 0 offen offset:1024// 000000008ACC: E05C1400 80865427
	v_mfma_f32_16x16x32_fp8_fp8 v[104:107], a[202:203], v[226:227], v[104:107]// 000000008AD4: D3F30068 0DA3C5CA
	v_mfma_f32_16x16x32_fp8_fp8 v[104:107], a[204:205], v[228:229], v[104:107]// 000000008ADC: D3F30068 0DA3C9CC
	v_mfma_f32_16x16x32_fp8_fp8 v[104:107], a[206:207], v[230:231], v[104:107]// 000000008AE4: D3F30068 0DA3CDCE
	v_mfma_f32_16x16x32_fp8_fp8 v[108:111], a[192:193], v[232:233], v[108:111]// 000000008AEC: D3F3006C 0DB3D1C0
	buffer_load_dwordx4 a[88:91], v39, s[24:27], 0 offen offset:2048// 000000008AF4: E05C1800 80865827
	v_mfma_f32_16x16x32_fp8_fp8 v[108:111], a[194:195], v[234:235], v[108:111]// 000000008AFC: D3F3006C 0DB3D5C2
	v_mfma_f32_16x16x32_fp8_fp8 v[108:111], a[196:197], v[236:237], v[108:111]// 000000008B04: D3F3006C 0DB3D9C4
	v_mfma_f32_16x16x32_fp8_fp8 v[108:111], a[198:199], v[238:239], v[108:111]// 000000008B0C: D3F3006C 0DB3DDC6
	v_mfma_f32_16x16x32_fp8_fp8 v[108:111], a[200:201], v[240:241], v[108:111]// 000000008B14: D3F3006C 0DB3E1C8
	buffer_load_dwordx4 a[92:95], v39, s[24:27], 0 offen offset:3072// 000000008B1C: E05C1C00 80865C27
	v_mfma_f32_16x16x32_fp8_fp8 v[108:111], a[202:203], v[242:243], v[108:111]// 000000008B24: D3F3006C 0DB3E5CA
	v_mfma_f32_16x16x32_fp8_fp8 v[108:111], a[204:205], v[244:245], v[108:111]// 000000008B2C: D3F3006C 0DB3E9CC
	v_mfma_f32_16x16x32_fp8_fp8 v[108:111], a[206:207], v[246:247], v[108:111]// 000000008B34: D3F3006C 0DB3EDCE
	s_waitcnt vmcnt(24)                                        // 000000008B3C: BF8C4F78
	v_mfma_f32_16x16x32_fp8_fp8 v[112:115], a[208:209], v[216:217], v[112:115]// 000000008B40: D3F30070 0DC3B1D0
	buffer_load_dwordx4 a[96:99], v40, s[24:27], 0 offen       // 000000008B48: E05C1000 80866028
	v_mfma_f32_16x16x32_fp8_fp8 v[112:115], a[210:211], v[218:219], v[112:115]// 000000008B50: D3F30070 0DC3B5D2
	v_mfma_f32_16x16x32_fp8_fp8 v[112:115], a[212:213], v[220:221], v[112:115]// 000000008B58: D3F30070 0DC3B9D4
	v_mfma_f32_16x16x32_fp8_fp8 v[112:115], a[214:215], v[222:223], v[112:115]// 000000008B60: D3F30070 0DC3BDD6
	v_mfma_f32_16x16x32_fp8_fp8 v[112:115], a[216:217], v[224:225], v[112:115]// 000000008B68: D3F30070 0DC3C1D8
	buffer_load_dwordx4 a[100:103], v40, s[24:27], 0 offen offset:1024// 000000008B70: E05C1400 80866428
	v_mfma_f32_16x16x32_fp8_fp8 v[112:115], a[218:219], v[226:227], v[112:115]// 000000008B78: D3F30070 0DC3C5DA
	v_mfma_f32_16x16x32_fp8_fp8 v[112:115], a[220:221], v[228:229], v[112:115]// 000000008B80: D3F30070 0DC3C9DC
	v_mfma_f32_16x16x32_fp8_fp8 v[112:115], a[222:223], v[230:231], v[112:115]// 000000008B88: D3F30070 0DC3CDDE
	v_mfma_f32_16x16x32_fp8_fp8 v[116:119], a[208:209], v[232:233], v[116:119]// 000000008B90: D3F30074 0DD3D1D0
	buffer_load_dwordx4 a[104:107], v40, s[24:27], 0 offen offset:2048// 000000008B98: E05C1800 80866828
	v_mfma_f32_16x16x32_fp8_fp8 v[116:119], a[210:211], v[234:235], v[116:119]// 000000008BA0: D3F30074 0DD3D5D2
	v_mfma_f32_16x16x32_fp8_fp8 v[116:119], a[212:213], v[236:237], v[116:119]// 000000008BA8: D3F30074 0DD3D9D4
	v_mfma_f32_16x16x32_fp8_fp8 v[116:119], a[214:215], v[238:239], v[116:119]// 000000008BB0: D3F30074 0DD3DDD6
	v_mfma_f32_16x16x32_fp8_fp8 v[116:119], a[216:217], v[240:241], v[116:119]// 000000008BB8: D3F30074 0DD3E1D8
	buffer_load_dwordx4 a[108:111], v40, s[24:27], 0 offen offset:3072// 000000008BC0: E05C1C00 80866C28
	v_mfma_f32_16x16x32_fp8_fp8 v[116:119], a[218:219], v[242:243], v[116:119]// 000000008BC8: D3F30074 0DD3E5DA
	v_mfma_f32_16x16x32_fp8_fp8 v[116:119], a[220:221], v[244:245], v[116:119]// 000000008BD0: D3F30074 0DD3E9DC
	v_mfma_f32_16x16x32_fp8_fp8 v[116:119], a[222:223], v[246:247], v[116:119]// 000000008BD8: D3F30074 0DD3EDDE
	s_add_u32 s60, 0x200, s80                                  // 000000008BE0: 803C50FF 00000200
	s_cmp_lt_u32 s60, s81                                      // 000000008BE8: BF0A513C
	s_cselect_b32 s57, s57, 0                                  // 000000008BEC: 85398039
	s_add_u32 s60, 0x200, s80                                  // 000000008BF0: 803C50FF 00000200
	s_cmp_lt_u32 s60, s81                                      // 000000008BF8: BF0A513C
	s_cselect_b32 s58, s58, 0                                  // 000000008BFC: 853A803A
	s_add_u32 s20, s57, s20                                    // 000000008C00: 80141439
	s_addc_u32 s21, 0, s21                                     // 000000008C04: 82151580
	s_add_u32 s24, s58, s24                                    // 000000008C08: 8018183A
	s_addc_u32 s25, 0, s25                                     // 000000008C0C: 82191980
	s_add_u32 s92, s90, s92                                    // 000000008C10: 805C5C5A
	s_addc_u32 s93, 0, s93                                     // 000000008C14: 825D5D80
	s_addk_i32 s80, 0x100                                      // 000000008C18: B7500100
	s_cmp_lt_i32 s80, s81                                      // 000000008C1C: BF045150
	s_cbranch_scc0 label_184A                                  // 000000008C20: BF840001
	s_branch label_134D                                        // 000000008C24: BF82FB03

0000000000008c28 <label_184A>:
	s_mov_b32 s36, -1                                          // 000000008C28: BEA400C1
	s_mov_b32 s37, -1                                          // 000000008C2C: BEA500C1
	s_mov_b64 s[60:61], 0                                      // 000000008C30: BEBC0180
	s_cmp_lt_u32 s82, s66                                      // 000000008C34: BF0A4252
	s_cselect_b64 s[20:21], s[36:37], s[60:61]                 // 000000008C38: 85943C24
	s_cmp_lt_u32 s83, s66                                      // 000000008C3C: BF0A4253
	s_cselect_b64 s[22:23], s[36:37], s[60:61]                 // 000000008C40: 85963C24
	s_cmp_lt_u32 s84, s66                                      // 000000008C44: BF0A4254
	s_cselect_b64 s[24:25], s[36:37], s[60:61]                 // 000000008C48: 85983C24
	s_cmp_lt_u32 s85, s66                                      // 000000008C4C: BF0A4255
	s_cselect_b64 s[26:27], s[36:37], s[60:61]                 // 000000008C50: 859A3C24
	s_cmp_lt_u32 s86, s66                                      // 000000008C54: BF0A4256
	s_cselect_b64 s[28:29], s[36:37], s[60:61]                 // 000000008C58: 859C3C24
	s_cmp_lt_u32 s87, s66                                      // 000000008C5C: BF0A4257
	s_cselect_b64 s[30:31], s[36:37], s[60:61]                 // 000000008C60: 859E3C24
	s_cmp_lt_u32 s88, s66                                      // 000000008C64: BF0A4258
	s_cselect_b64 s[32:33], s[36:37], s[60:61]                 // 000000008C68: 85A03C24
	s_cmp_lt_u32 s89, s66                                      // 000000008C6C: BF0A4259
	s_cselect_b64 s[34:35], s[36:37], s[60:61]                 // 000000008C70: 85A23C24
	v_mul_f32_e32 v128, v14, v128                              // 000000008C74: 0B01010E
	v_mul_f32_e32 v129, v14, v129                              // 000000008C78: 0B03030E
	v_mul_f32_e32 v130, v14, v130                              // 000000008C7C: 0B05050E
	v_mul_f32_e32 v131, v14, v131                              // 000000008C80: 0B07070E
	v_mul_f32_dpp v128, v16, v128 row_newbcast:0 row_mask:0xf bank_mask:0xf// 000000008C84: 0B0100FA FF015010
	v_mul_f32_dpp v129, v16, v129 row_newbcast:1 row_mask:0xf bank_mask:0xf// 000000008C8C: 0B0302FA FF015110
	v_mul_f32_dpp v130, v16, v130 row_newbcast:2 row_mask:0xf bank_mask:0xf// 000000008C94: 0B0504FA FF015210
	v_mul_f32_dpp v131, v16, v131 row_newbcast:3 row_mask:0xf bank_mask:0xf// 000000008C9C: 0B0706FA FF015310
	v_mul_f32_e32 v132, v15, v132                              // 000000008CA4: 0B09090F
	v_mul_f32_e32 v133, v15, v133                              // 000000008CA8: 0B0B0B0F
	v_mul_f32_e32 v134, v15, v134                              // 000000008CAC: 0B0D0D0F
	v_mul_f32_e32 v135, v15, v135                              // 000000008CB0: 0B0F0F0F
	v_mul_f32_dpp v132, v16, v132 row_newbcast:0 row_mask:0xf bank_mask:0xf// 000000008CB4: 0B0908FA FF015010
	v_mul_f32_dpp v133, v16, v133 row_newbcast:1 row_mask:0xf bank_mask:0xf// 000000008CBC: 0B0B0AFA FF015110
	v_mul_f32_dpp v134, v16, v134 row_newbcast:2 row_mask:0xf bank_mask:0xf// 000000008CC4: 0B0D0CFA FF015210
	v_mul_f32_dpp v135, v16, v135 row_newbcast:3 row_mask:0xf bank_mask:0xf// 000000008CCC: 0B0F0EFA FF015310
	v_mul_f32_e32 v136, v14, v136                              // 000000008CD4: 0B11110E
	v_mul_f32_e32 v137, v14, v137                              // 000000008CD8: 0B13130E
	v_mul_f32_e32 v138, v14, v138                              // 000000008CDC: 0B15150E
	v_mul_f32_e32 v139, v14, v139                              // 000000008CE0: 0B17170E
	v_mul_f32_dpp v136, v16, v136 row_newbcast:4 row_mask:0xf bank_mask:0xf// 000000008CE4: 0B1110FA FF015410
	v_mul_f32_dpp v137, v16, v137 row_newbcast:5 row_mask:0xf bank_mask:0xf// 000000008CEC: 0B1312FA FF015510
	v_mul_f32_dpp v138, v16, v138 row_newbcast:6 row_mask:0xf bank_mask:0xf// 000000008CF4: 0B1514FA FF015610
	v_mul_f32_dpp v139, v16, v139 row_newbcast:7 row_mask:0xf bank_mask:0xf// 000000008CFC: 0B1716FA FF015710
	v_mul_f32_e32 v140, v15, v140                              // 000000008D04: 0B19190F
	v_mul_f32_e32 v141, v15, v141                              // 000000008D08: 0B1B1B0F
	v_mul_f32_e32 v142, v15, v142                              // 000000008D0C: 0B1D1D0F
	v_mul_f32_e32 v143, v15, v143                              // 000000008D10: 0B1F1F0F
	v_mul_f32_dpp v140, v16, v140 row_newbcast:4 row_mask:0xf bank_mask:0xf// 000000008D14: 0B1918FA FF015410
	v_mul_f32_dpp v141, v16, v141 row_newbcast:5 row_mask:0xf bank_mask:0xf// 000000008D1C: 0B1B1AFA FF015510
	v_mul_f32_dpp v142, v16, v142 row_newbcast:6 row_mask:0xf bank_mask:0xf// 000000008D24: 0B1D1CFA FF015610
	v_mul_f32_dpp v143, v16, v143 row_newbcast:7 row_mask:0xf bank_mask:0xf// 000000008D2C: 0B1F1EFA FF015710
	v_mul_f32_e32 v144, v14, v144                              // 000000008D34: 0B21210E
	v_mul_f32_e32 v145, v14, v145                              // 000000008D38: 0B23230E
	v_mul_f32_e32 v146, v14, v146                              // 000000008D3C: 0B25250E
	v_mul_f32_e32 v147, v14, v147                              // 000000008D40: 0B27270E
	v_mul_f32_dpp v144, v16, v144 row_newbcast:8 row_mask:0xf bank_mask:0xf// 000000008D44: 0B2120FA FF015810
	v_mul_f32_dpp v145, v16, v145 row_newbcast:9 row_mask:0xf bank_mask:0xf// 000000008D4C: 0B2322FA FF015910
	v_mul_f32_dpp v146, v16, v146 row_newbcast:10 row_mask:0xf bank_mask:0xf// 000000008D54: 0B2524FA FF015A10
	v_mul_f32_dpp v147, v16, v147 row_newbcast:11 row_mask:0xf bank_mask:0xf// 000000008D5C: 0B2726FA FF015B10
	v_mul_f32_e32 v148, v15, v148                              // 000000008D64: 0B29290F
	v_mul_f32_e32 v149, v15, v149                              // 000000008D68: 0B2B2B0F
	v_mul_f32_e32 v150, v15, v150                              // 000000008D6C: 0B2D2D0F
	v_mul_f32_e32 v151, v15, v151                              // 000000008D70: 0B2F2F0F
	v_mul_f32_dpp v148, v16, v148 row_newbcast:8 row_mask:0xf bank_mask:0xf// 000000008D74: 0B2928FA FF015810
	v_mul_f32_dpp v149, v16, v149 row_newbcast:9 row_mask:0xf bank_mask:0xf// 000000008D7C: 0B2B2AFA FF015910
	v_mul_f32_dpp v150, v16, v150 row_newbcast:10 row_mask:0xf bank_mask:0xf// 000000008D84: 0B2D2CFA FF015A10
	v_mul_f32_dpp v151, v16, v151 row_newbcast:11 row_mask:0xf bank_mask:0xf// 000000008D8C: 0B2F2EFA FF015B10
	v_mul_f32_e32 v152, v14, v152                              // 000000008D94: 0B31310E
	v_mul_f32_e32 v153, v14, v153                              // 000000008D98: 0B33330E
	v_mul_f32_e32 v154, v14, v154                              // 000000008D9C: 0B35350E
	v_mul_f32_e32 v155, v14, v155                              // 000000008DA0: 0B37370E
	v_mul_f32_dpp v152, v16, v152 row_newbcast:12 row_mask:0xf bank_mask:0xf// 000000008DA4: 0B3130FA FF015C10
	v_mul_f32_dpp v153, v16, v153 row_newbcast:13 row_mask:0xf bank_mask:0xf// 000000008DAC: 0B3332FA FF015D10
	v_mul_f32_dpp v154, v16, v154 row_newbcast:14 row_mask:0xf bank_mask:0xf// 000000008DB4: 0B3534FA FF015E10
	v_mul_f32_dpp v155, v16, v155 row_newbcast:15 row_mask:0xf bank_mask:0xf// 000000008DBC: 0B3736FA FF015F10
	v_mul_f32_e32 v156, v15, v156                              // 000000008DC4: 0B39390F
	v_mul_f32_e32 v157, v15, v157                              // 000000008DC8: 0B3B3B0F
	v_mul_f32_e32 v158, v15, v158                              // 000000008DCC: 0B3D3D0F
	v_mul_f32_e32 v159, v15, v159                              // 000000008DD0: 0B3F3F0F
	v_mul_f32_dpp v156, v16, v156 row_newbcast:12 row_mask:0xf bank_mask:0xf// 000000008DD4: 0B3938FA FF015C10
	v_mul_f32_dpp v157, v16, v157 row_newbcast:13 row_mask:0xf bank_mask:0xf// 000000008DDC: 0B3B3AFA FF015D10
	v_mul_f32_dpp v158, v16, v158 row_newbcast:14 row_mask:0xf bank_mask:0xf// 000000008DE4: 0B3D3CFA FF015E10
	v_mul_f32_dpp v159, v16, v159 row_newbcast:15 row_mask:0xf bank_mask:0xf// 000000008DEC: 0B3F3EFA FF015F10
	v_mul_f32_e32 v160, v14, v160                              // 000000008DF4: 0B41410E
	v_mul_f32_e32 v161, v14, v161                              // 000000008DF8: 0B43430E
	v_mul_f32_e32 v162, v14, v162                              // 000000008DFC: 0B45450E
	v_mul_f32_e32 v163, v14, v163                              // 000000008E00: 0B47470E
	v_mul_f32_dpp v160, v17, v160 row_newbcast:0 row_mask:0xf bank_mask:0xf// 000000008E04: 0B4140FA FF015011
	v_mul_f32_dpp v161, v17, v161 row_newbcast:1 row_mask:0xf bank_mask:0xf// 000000008E0C: 0B4342FA FF015111
	v_mul_f32_dpp v162, v17, v162 row_newbcast:2 row_mask:0xf bank_mask:0xf// 000000008E14: 0B4544FA FF015211
	v_mul_f32_dpp v163, v17, v163 row_newbcast:3 row_mask:0xf bank_mask:0xf// 000000008E1C: 0B4746FA FF015311
	v_mul_f32_e32 v164, v15, v164                              // 000000008E24: 0B49490F
	v_mul_f32_e32 v165, v15, v165                              // 000000008E28: 0B4B4B0F
	v_mul_f32_e32 v166, v15, v166                              // 000000008E2C: 0B4D4D0F
	v_mul_f32_e32 v167, v15, v167                              // 000000008E30: 0B4F4F0F
	v_mul_f32_dpp v164, v17, v164 row_newbcast:0 row_mask:0xf bank_mask:0xf// 000000008E34: 0B4948FA FF015011
	v_mul_f32_dpp v165, v17, v165 row_newbcast:1 row_mask:0xf bank_mask:0xf// 000000008E3C: 0B4B4AFA FF015111
	v_mul_f32_dpp v166, v17, v166 row_newbcast:2 row_mask:0xf bank_mask:0xf// 000000008E44: 0B4D4CFA FF015211
	v_mul_f32_dpp v167, v17, v167 row_newbcast:3 row_mask:0xf bank_mask:0xf// 000000008E4C: 0B4F4EFA FF015311
	v_mul_f32_e32 v168, v14, v168                              // 000000008E54: 0B51510E
	v_mul_f32_e32 v169, v14, v169                              // 000000008E58: 0B53530E
	v_mul_f32_e32 v170, v14, v170                              // 000000008E5C: 0B55550E
	v_mul_f32_e32 v171, v14, v171                              // 000000008E60: 0B57570E
	v_mul_f32_dpp v168, v17, v168 row_newbcast:4 row_mask:0xf bank_mask:0xf// 000000008E64: 0B5150FA FF015411
	v_mul_f32_dpp v169, v17, v169 row_newbcast:5 row_mask:0xf bank_mask:0xf// 000000008E6C: 0B5352FA FF015511
	v_mul_f32_dpp v170, v17, v170 row_newbcast:6 row_mask:0xf bank_mask:0xf// 000000008E74: 0B5554FA FF015611
	v_mul_f32_dpp v171, v17, v171 row_newbcast:7 row_mask:0xf bank_mask:0xf// 000000008E7C: 0B5756FA FF015711
	v_mul_f32_e32 v172, v15, v172                              // 000000008E84: 0B59590F
	v_mul_f32_e32 v173, v15, v173                              // 000000008E88: 0B5B5B0F
	v_mul_f32_e32 v174, v15, v174                              // 000000008E8C: 0B5D5D0F
	v_mul_f32_e32 v175, v15, v175                              // 000000008E90: 0B5F5F0F
	v_mul_f32_dpp v172, v17, v172 row_newbcast:4 row_mask:0xf bank_mask:0xf// 000000008E94: 0B5958FA FF015411
	v_mul_f32_dpp v173, v17, v173 row_newbcast:5 row_mask:0xf bank_mask:0xf// 000000008E9C: 0B5B5AFA FF015511
	v_mul_f32_dpp v174, v17, v174 row_newbcast:6 row_mask:0xf bank_mask:0xf// 000000008EA4: 0B5D5CFA FF015611
	v_mul_f32_dpp v175, v17, v175 row_newbcast:7 row_mask:0xf bank_mask:0xf// 000000008EAC: 0B5F5EFA FF015711
	v_mul_f32_e32 v176, v14, v176                              // 000000008EB4: 0B61610E
	v_mul_f32_e32 v177, v14, v177                              // 000000008EB8: 0B63630E
	v_mul_f32_e32 v178, v14, v178                              // 000000008EBC: 0B65650E
	v_mul_f32_e32 v179, v14, v179                              // 000000008EC0: 0B67670E
	v_mul_f32_dpp v176, v17, v176 row_newbcast:8 row_mask:0xf bank_mask:0xf// 000000008EC4: 0B6160FA FF015811
	v_mul_f32_dpp v177, v17, v177 row_newbcast:9 row_mask:0xf bank_mask:0xf// 000000008ECC: 0B6362FA FF015911
	v_mul_f32_dpp v178, v17, v178 row_newbcast:10 row_mask:0xf bank_mask:0xf// 000000008ED4: 0B6564FA FF015A11
	v_mul_f32_dpp v179, v17, v179 row_newbcast:11 row_mask:0xf bank_mask:0xf// 000000008EDC: 0B6766FA FF015B11
	v_mul_f32_e32 v180, v15, v180                              // 000000008EE4: 0B69690F
	v_mul_f32_e32 v181, v15, v181                              // 000000008EE8: 0B6B6B0F
	v_mul_f32_e32 v182, v15, v182                              // 000000008EEC: 0B6D6D0F
	v_mul_f32_e32 v183, v15, v183                              // 000000008EF0: 0B6F6F0F
	v_mul_f32_dpp v180, v17, v180 row_newbcast:8 row_mask:0xf bank_mask:0xf// 000000008EF4: 0B6968FA FF015811
	v_mul_f32_dpp v181, v17, v181 row_newbcast:9 row_mask:0xf bank_mask:0xf// 000000008EFC: 0B6B6AFA FF015911
	v_mul_f32_dpp v182, v17, v182 row_newbcast:10 row_mask:0xf bank_mask:0xf// 000000008F04: 0B6D6CFA FF015A11
	v_mul_f32_dpp v183, v17, v183 row_newbcast:11 row_mask:0xf bank_mask:0xf// 000000008F0C: 0B6F6EFA FF015B11
	v_mul_f32_e32 v64, v14, v64                                // 000000008F14: 0A80810E
	v_mul_f32_e32 v65, v14, v65                                // 000000008F18: 0A82830E
	v_mul_f32_e32 v66, v14, v66                                // 000000008F1C: 0A84850E
	v_mul_f32_e32 v67, v14, v67                                // 000000008F20: 0A86870E
	v_mul_f32_dpp v64, v49, v64 row_newbcast:0 row_mask:0xf bank_mask:0xf// 000000008F24: 0A8080FA FF015031
	v_mul_f32_dpp v65, v49, v65 row_newbcast:1 row_mask:0xf bank_mask:0xf// 000000008F2C: 0A8282FA FF015131
	v_mul_f32_dpp v66, v49, v66 row_newbcast:2 row_mask:0xf bank_mask:0xf// 000000008F34: 0A8484FA FF015231
	v_mul_f32_dpp v67, v49, v67 row_newbcast:3 row_mask:0xf bank_mask:0xf// 000000008F3C: 0A8686FA FF015331
	v_mul_f32_e32 v68, v15, v68                                // 000000008F44: 0A88890F
	v_mul_f32_e32 v69, v15, v69                                // 000000008F48: 0A8A8B0F
	v_mul_f32_e32 v70, v15, v70                                // 000000008F4C: 0A8C8D0F
	v_mul_f32_e32 v71, v15, v71                                // 000000008F50: 0A8E8F0F
	v_mul_f32_dpp v68, v49, v68 row_newbcast:0 row_mask:0xf bank_mask:0xf// 000000008F54: 0A8888FA FF015031
	v_mul_f32_dpp v69, v49, v69 row_newbcast:1 row_mask:0xf bank_mask:0xf// 000000008F5C: 0A8A8AFA FF015131
	v_mul_f32_dpp v70, v49, v70 row_newbcast:2 row_mask:0xf bank_mask:0xf// 000000008F64: 0A8C8CFA FF015231
	v_mul_f32_dpp v71, v49, v71 row_newbcast:3 row_mask:0xf bank_mask:0xf// 000000008F6C: 0A8E8EFA FF015331
	v_mul_f32_e32 v72, v14, v72                                // 000000008F74: 0A90910E
	v_mul_f32_e32 v73, v14, v73                                // 000000008F78: 0A92930E
	v_mul_f32_e32 v74, v14, v74                                // 000000008F7C: 0A94950E
	v_mul_f32_e32 v75, v14, v75                                // 000000008F80: 0A96970E
	v_mul_f32_dpp v72, v49, v72 row_newbcast:4 row_mask:0xf bank_mask:0xf// 000000008F84: 0A9090FA FF015431
	v_mul_f32_dpp v73, v49, v73 row_newbcast:5 row_mask:0xf bank_mask:0xf// 000000008F8C: 0A9292FA FF015531
	v_mul_f32_dpp v74, v49, v74 row_newbcast:6 row_mask:0xf bank_mask:0xf// 000000008F94: 0A9494FA FF015631
	v_mul_f32_dpp v75, v49, v75 row_newbcast:7 row_mask:0xf bank_mask:0xf// 000000008F9C: 0A9696FA FF015731
	v_mul_f32_e32 v76, v15, v76                                // 000000008FA4: 0A98990F
	v_mul_f32_e32 v77, v15, v77                                // 000000008FA8: 0A9A9B0F
	v_mul_f32_e32 v78, v15, v78                                // 000000008FAC: 0A9C9D0F
	v_mul_f32_e32 v79, v15, v79                                // 000000008FB0: 0A9E9F0F
	v_mul_f32_dpp v76, v49, v76 row_newbcast:4 row_mask:0xf bank_mask:0xf// 000000008FB4: 0A9898FA FF015431
	v_mul_f32_dpp v77, v49, v77 row_newbcast:5 row_mask:0xf bank_mask:0xf// 000000008FBC: 0A9A9AFA FF015531
	v_mul_f32_dpp v78, v49, v78 row_newbcast:6 row_mask:0xf bank_mask:0xf// 000000008FC4: 0A9C9CFA FF015631
	v_mul_f32_dpp v79, v49, v79 row_newbcast:7 row_mask:0xf bank_mask:0xf// 000000008FCC: 0A9E9EFA FF015731
	v_mul_f32_e32 v80, v14, v80                                // 000000008FD4: 0AA0A10E
	v_mul_f32_e32 v81, v14, v81                                // 000000008FD8: 0AA2A30E
	v_mul_f32_e32 v82, v14, v82                                // 000000008FDC: 0AA4A50E
	v_mul_f32_e32 v83, v14, v83                                // 000000008FE0: 0AA6A70E
	v_mul_f32_dpp v80, v49, v80 row_newbcast:8 row_mask:0xf bank_mask:0xf// 000000008FE4: 0AA0A0FA FF015831
	v_mul_f32_dpp v81, v49, v81 row_newbcast:9 row_mask:0xf bank_mask:0xf// 000000008FEC: 0AA2A2FA FF015931
	v_mul_f32_dpp v82, v49, v82 row_newbcast:10 row_mask:0xf bank_mask:0xf// 000000008FF4: 0AA4A4FA FF015A31
	v_mul_f32_dpp v83, v49, v83 row_newbcast:11 row_mask:0xf bank_mask:0xf// 000000008FFC: 0AA6A6FA FF015B31
	v_mul_f32_e32 v84, v15, v84                                // 000000009004: 0AA8A90F
	v_mul_f32_e32 v85, v15, v85                                // 000000009008: 0AAAAB0F
	v_mul_f32_e32 v86, v15, v86                                // 00000000900C: 0AACAD0F
	v_mul_f32_e32 v87, v15, v87                                // 000000009010: 0AAEAF0F
	v_mul_f32_dpp v84, v49, v84 row_newbcast:8 row_mask:0xf bank_mask:0xf// 000000009014: 0AA8A8FA FF015831
	v_mul_f32_dpp v85, v49, v85 row_newbcast:9 row_mask:0xf bank_mask:0xf// 00000000901C: 0AAAAAFA FF015931
	v_mul_f32_dpp v86, v49, v86 row_newbcast:10 row_mask:0xf bank_mask:0xf// 000000009024: 0AACACFA FF015A31
	v_mul_f32_dpp v87, v49, v87 row_newbcast:11 row_mask:0xf bank_mask:0xf// 00000000902C: 0AAEAEFA FF015B31
	v_mul_f32_e32 v88, v14, v88                                // 000000009034: 0AB0B10E
	v_mul_f32_e32 v89, v14, v89                                // 000000009038: 0AB2B30E
	v_mul_f32_e32 v90, v14, v90                                // 00000000903C: 0AB4B50E
	v_mul_f32_e32 v91, v14, v91                                // 000000009040: 0AB6B70E
	v_mul_f32_dpp v88, v49, v88 row_newbcast:12 row_mask:0xf bank_mask:0xf// 000000009044: 0AB0B0FA FF015C31
	v_mul_f32_dpp v89, v49, v89 row_newbcast:13 row_mask:0xf bank_mask:0xf// 00000000904C: 0AB2B2FA FF015D31
	v_mul_f32_dpp v90, v49, v90 row_newbcast:14 row_mask:0xf bank_mask:0xf// 000000009054: 0AB4B4FA FF015E31
	v_mul_f32_dpp v91, v49, v91 row_newbcast:15 row_mask:0xf bank_mask:0xf// 00000000905C: 0AB6B6FA FF015F31
	v_mul_f32_e32 v92, v15, v92                                // 000000009064: 0AB8B90F
	v_mul_f32_e32 v93, v15, v93                                // 000000009068: 0ABABB0F
	v_mul_f32_e32 v94, v15, v94                                // 00000000906C: 0ABCBD0F
	v_mul_f32_e32 v95, v15, v95                                // 000000009070: 0ABEBF0F
	v_mul_f32_dpp v92, v49, v92 row_newbcast:12 row_mask:0xf bank_mask:0xf// 000000009074: 0AB8B8FA FF015C31
	v_mul_f32_dpp v93, v49, v93 row_newbcast:13 row_mask:0xf bank_mask:0xf// 00000000907C: 0ABABAFA FF015D31
	v_mul_f32_dpp v94, v49, v94 row_newbcast:14 row_mask:0xf bank_mask:0xf// 000000009084: 0ABCBCFA FF015E31
	v_mul_f32_dpp v95, v49, v95 row_newbcast:15 row_mask:0xf bank_mask:0xf// 00000000908C: 0ABEBEFA FF015F31
	v_mul_f32_e32 v96, v14, v96                                // 000000009094: 0AC0C10E
	v_mul_f32_e32 v97, v14, v97                                // 000000009098: 0AC2C30E
	v_mul_f32_e32 v98, v14, v98                                // 00000000909C: 0AC4C50E
	v_mul_f32_e32 v99, v14, v99                                // 0000000090A0: 0AC6C70E
	v_mul_f32_dpp v96, v50, v96 row_newbcast:0 row_mask:0xf bank_mask:0xf// 0000000090A4: 0AC0C0FA FF015032
	v_mul_f32_dpp v97, v50, v97 row_newbcast:1 row_mask:0xf bank_mask:0xf// 0000000090AC: 0AC2C2FA FF015132
	v_mul_f32_dpp v98, v50, v98 row_newbcast:2 row_mask:0xf bank_mask:0xf// 0000000090B4: 0AC4C4FA FF015232
	v_mul_f32_dpp v99, v50, v99 row_newbcast:3 row_mask:0xf bank_mask:0xf// 0000000090BC: 0AC6C6FA FF015332
	v_mul_f32_e32 v100, v15, v100                              // 0000000090C4: 0AC8C90F
	v_mul_f32_e32 v101, v15, v101                              // 0000000090C8: 0ACACB0F
	v_mul_f32_e32 v102, v15, v102                              // 0000000090CC: 0ACCCD0F
	v_mul_f32_e32 v103, v15, v103                              // 0000000090D0: 0ACECF0F
	v_mul_f32_dpp v100, v50, v100 row_newbcast:0 row_mask:0xf bank_mask:0xf// 0000000090D4: 0AC8C8FA FF015032
	v_mul_f32_dpp v101, v50, v101 row_newbcast:1 row_mask:0xf bank_mask:0xf// 0000000090DC: 0ACACAFA FF015132
	v_mul_f32_dpp v102, v50, v102 row_newbcast:2 row_mask:0xf bank_mask:0xf// 0000000090E4: 0ACCCCFA FF015232
	v_mul_f32_dpp v103, v50, v103 row_newbcast:3 row_mask:0xf bank_mask:0xf// 0000000090EC: 0ACECEFA FF015332
	v_mul_f32_e32 v104, v14, v104                              // 0000000090F4: 0AD0D10E
	v_mul_f32_e32 v105, v14, v105                              // 0000000090F8: 0AD2D30E
	v_mul_f32_e32 v106, v14, v106                              // 0000000090FC: 0AD4D50E
	v_mul_f32_e32 v107, v14, v107                              // 000000009100: 0AD6D70E
	v_mul_f32_dpp v104, v50, v104 row_newbcast:4 row_mask:0xf bank_mask:0xf// 000000009104: 0AD0D0FA FF015432
	v_mul_f32_dpp v105, v50, v105 row_newbcast:5 row_mask:0xf bank_mask:0xf// 00000000910C: 0AD2D2FA FF015532
	v_mul_f32_dpp v106, v50, v106 row_newbcast:6 row_mask:0xf bank_mask:0xf// 000000009114: 0AD4D4FA FF015632
	v_mul_f32_dpp v107, v50, v107 row_newbcast:7 row_mask:0xf bank_mask:0xf// 00000000911C: 0AD6D6FA FF015732
	v_mul_f32_e32 v108, v15, v108                              // 000000009124: 0AD8D90F
	v_mul_f32_e32 v109, v15, v109                              // 000000009128: 0ADADB0F
	v_mul_f32_e32 v110, v15, v110                              // 00000000912C: 0ADCDD0F
	v_mul_f32_e32 v111, v15, v111                              // 000000009130: 0ADEDF0F
	v_mul_f32_dpp v108, v50, v108 row_newbcast:4 row_mask:0xf bank_mask:0xf// 000000009134: 0AD8D8FA FF015432
	v_mul_f32_dpp v109, v50, v109 row_newbcast:5 row_mask:0xf bank_mask:0xf// 00000000913C: 0ADADAFA FF015532
	v_mul_f32_dpp v110, v50, v110 row_newbcast:6 row_mask:0xf bank_mask:0xf// 000000009144: 0ADCDCFA FF015632
	v_mul_f32_dpp v111, v50, v111 row_newbcast:7 row_mask:0xf bank_mask:0xf// 00000000914C: 0ADEDEFA FF015732
	v_mul_f32_e32 v112, v14, v112                              // 000000009154: 0AE0E10E
	v_mul_f32_e32 v113, v14, v113                              // 000000009158: 0AE2E30E
	v_mul_f32_e32 v114, v14, v114                              // 00000000915C: 0AE4E50E
	v_mul_f32_e32 v115, v14, v115                              // 000000009160: 0AE6E70E
	v_mul_f32_dpp v112, v50, v112 row_newbcast:8 row_mask:0xf bank_mask:0xf// 000000009164: 0AE0E0FA FF015832
	v_mul_f32_dpp v113, v50, v113 row_newbcast:9 row_mask:0xf bank_mask:0xf// 00000000916C: 0AE2E2FA FF015932
	v_mul_f32_dpp v114, v50, v114 row_newbcast:10 row_mask:0xf bank_mask:0xf// 000000009174: 0AE4E4FA FF015A32
	v_mul_f32_dpp v115, v50, v115 row_newbcast:11 row_mask:0xf bank_mask:0xf// 00000000917C: 0AE6E6FA FF015B32
	v_mul_f32_e32 v116, v15, v116                              // 000000009184: 0AE8E90F
	v_mul_f32_e32 v117, v15, v117                              // 000000009188: 0AEAEB0F
	v_mul_f32_e32 v118, v15, v118                              // 00000000918C: 0AECED0F
	v_mul_f32_e32 v119, v15, v119                              // 000000009190: 0AEEEF0F
	v_mul_f32_dpp v116, v50, v116 row_newbcast:8 row_mask:0xf bank_mask:0xf// 000000009194: 0AE8E8FA FF015832
	v_mul_f32_dpp v117, v50, v117 row_newbcast:9 row_mask:0xf bank_mask:0xf// 00000000919C: 0AEAEAFA FF015932
	v_mul_f32_dpp v118, v50, v118 row_newbcast:10 row_mask:0xf bank_mask:0xf// 0000000091A4: 0AECECFA FF015A32
	v_mul_f32_dpp v119, v50, v119 row_newbcast:11 row_mask:0xf bank_mask:0xf// 0000000091AC: 0AEEEEFA FF015B32
	s_waitcnt vmcnt(24)                                        // 0000000091B4: BF8C4F78
	buffer_load_dwordx4 a[0:3], v41, s[12:15], 0 offen         // 0000000091B8: E05C1000 80830029
	v_mul_f32_e64 v52, -v128, s6                               // 0000000091C0: D1050034 20000D80
	v_mul_f32_e64 v53, -v129, s6                               // 0000000091C8: D1050035 20000D81
	v_mul_f32_e64 v54, -v130, s6                               // 0000000091D0: D1050036 20000D82
	v_mul_f32_e64 v55, -v131, s6                               // 0000000091D8: D1050037 20000D83
	v_exp_f32_e32 v52, v52                                     // 0000000091E0: 7E684134
	v_exp_f32_e32 v53, v53                                     // 0000000091E4: 7E6A4135
	v_exp_f32_e32 v54, v54                                     // 0000000091E8: 7E6C4136
	v_exp_f32_e32 v55, v55                                     // 0000000091EC: 7E6E4137
	buffer_load_dwordx4 a[4:7], v42, s[12:15], 0 offen         // 0000000091F0: E05C1000 8083042A
	v_add_f32_e64 v52, v52, 1.0                                // 0000000091F8: D1010034 0001E534
	v_add_f32_e64 v53, v53, 1.0                                // 000000009200: D1010035 0001E535
	v_add_f32_e64 v54, v54, 1.0                                // 000000009208: D1010036 0001E536
	v_add_f32_e64 v55, v55, 1.0                                // 000000009210: D1010037 0001E537
	v_rcp_f32_e32 v52, v52                                     // 000000009218: 7E684534
	v_rcp_f32_e32 v53, v53                                     // 00000000921C: 7E6A4535
	v_rcp_f32_e32 v54, v54                                     // 000000009220: 7E6C4536
	v_rcp_f32_e32 v55, v55                                     // 000000009224: 7E6E4537
	v_mul_f32_e32 v128, v128, v52                              // 000000009228: 0B006980
	v_mul_f32_e32 v129, v129, v53                              // 00000000922C: 0B026B81
	v_mul_f32_e32 v130, v130, v54                              // 000000009230: 0B046D82
	v_mul_f32_e32 v131, v131, v55                              // 000000009234: 0B066F83
	v_mul_f32_e32 v128, v128, v64                              // 000000009238: 0B008180
	v_mul_f32_e32 v129, v129, v65                              // 00000000923C: 0B028381
	v_mul_f32_e32 v130, v130, v66                              // 000000009240: 0B048582
	v_mul_f32_e32 v131, v131, v67                              // 000000009244: 0B068783
	buffer_load_dwordx4 a[8:11], v43, s[12:15], 0 offen        // 000000009248: E05C1000 8083082B
	v_mul_f32_e64 v52, -v132, s6                               // 000000009250: D1050034 20000D84
	v_mul_f32_e64 v53, -v133, s6                               // 000000009258: D1050035 20000D85
	v_mul_f32_e64 v54, -v134, s6                               // 000000009260: D1050036 20000D86
	v_mul_f32_e64 v55, -v135, s6                               // 000000009268: D1050037 20000D87
	v_exp_f32_e32 v52, v52                                     // 000000009270: 7E684134
	v_exp_f32_e32 v53, v53                                     // 000000009274: 7E6A4135
	v_exp_f32_e32 v54, v54                                     // 000000009278: 7E6C4136
	v_exp_f32_e32 v55, v55                                     // 00000000927C: 7E6E4137
	buffer_load_dwordx4 a[12:15], v44, s[12:15], 0 offen       // 000000009280: E05C1000 80830C2C
	s_add_u32 s12, s78, s12                                    // 000000009288: 800C0C4E
	s_addc_u32 s13, 0, s13                                     // 00000000928C: 820D0D80
	v_add_f32_e64 v52, v52, 1.0                                // 000000009290: D1010034 0001E534
	v_add_f32_e64 v53, v53, 1.0                                // 000000009298: D1010035 0001E535
	v_add_f32_e64 v54, v54, 1.0                                // 0000000092A0: D1010036 0001E536
	v_add_f32_e64 v55, v55, 1.0                                // 0000000092A8: D1010037 0001E537
	v_rcp_f32_e32 v52, v52                                     // 0000000092B0: 7E684534
	v_rcp_f32_e32 v53, v53                                     // 0000000092B4: 7E6A4535
	v_rcp_f32_e32 v54, v54                                     // 0000000092B8: 7E6C4536
	v_rcp_f32_e32 v55, v55                                     // 0000000092BC: 7E6E4537
	v_mul_f32_e32 v132, v132, v52                              // 0000000092C0: 0B086984
	v_mul_f32_e32 v133, v133, v53                              // 0000000092C4: 0B0A6B85
	v_mul_f32_e32 v134, v134, v54                              // 0000000092C8: 0B0C6D86
	v_mul_f32_e32 v135, v135, v55                              // 0000000092CC: 0B0E6F87
	v_mul_f32_e32 v132, v132, v68                              // 0000000092D0: 0B088984
	v_mul_f32_e32 v133, v133, v69                              // 0000000092D4: 0B0A8B85
	v_mul_f32_e32 v134, v134, v70                              // 0000000092D8: 0B0C8D86
	v_mul_f32_e32 v135, v135, v71                              // 0000000092DC: 0B0E8F87
	s_waitcnt vmcnt(24)                                        // 0000000092E0: BF8C4F78
	buffer_load_dwordx4 a[16:19], v41, s[12:15], 0 offen       // 0000000092E4: E05C1000 80831029
	v_mul_f32_e64 v52, -v136, s6                               // 0000000092EC: D1050034 20000D88
	v_mul_f32_e64 v53, -v137, s6                               // 0000000092F4: D1050035 20000D89
	v_mul_f32_e64 v54, -v138, s6                               // 0000000092FC: D1050036 20000D8A
	v_mul_f32_e64 v55, -v139, s6                               // 000000009304: D1050037 20000D8B
	v_exp_f32_e32 v52, v52                                     // 00000000930C: 7E684134
	v_exp_f32_e32 v53, v53                                     // 000000009310: 7E6A4135
	v_exp_f32_e32 v54, v54                                     // 000000009314: 7E6C4136
	v_exp_f32_e32 v55, v55                                     // 000000009318: 7E6E4137
	buffer_load_dwordx4 a[20:23], v42, s[12:15], 0 offen       // 00000000931C: E05C1000 8083142A
	v_add_f32_e64 v52, v52, 1.0                                // 000000009324: D1010034 0001E534
	v_add_f32_e64 v53, v53, 1.0                                // 00000000932C: D1010035 0001E535
	v_add_f32_e64 v54, v54, 1.0                                // 000000009334: D1010036 0001E536
	v_add_f32_e64 v55, v55, 1.0                                // 00000000933C: D1010037 0001E537
	v_rcp_f32_e32 v52, v52                                     // 000000009344: 7E684534
	v_rcp_f32_e32 v53, v53                                     // 000000009348: 7E6A4535
	v_rcp_f32_e32 v54, v54                                     // 00000000934C: 7E6C4536
	v_rcp_f32_e32 v55, v55                                     // 000000009350: 7E6E4537
	v_mul_f32_e32 v136, v136, v52                              // 000000009354: 0B106988
	v_mul_f32_e32 v137, v137, v53                              // 000000009358: 0B126B89
	v_mul_f32_e32 v138, v138, v54                              // 00000000935C: 0B146D8A
	v_mul_f32_e32 v139, v139, v55                              // 000000009360: 0B166F8B
	v_mul_f32_e32 v136, v136, v72                              // 000000009364: 0B109188
	v_mul_f32_e32 v137, v137, v73                              // 000000009368: 0B129389
	v_mul_f32_e32 v138, v138, v74                              // 00000000936C: 0B14958A
	v_mul_f32_e32 v139, v139, v75                              // 000000009370: 0B16978B
	buffer_load_dwordx4 a[24:27], v43, s[12:15], 0 offen       // 000000009374: E05C1000 8083182B
	v_mul_f32_e64 v52, -v140, s6                               // 00000000937C: D1050034 20000D8C
	v_mul_f32_e64 v53, -v141, s6                               // 000000009384: D1050035 20000D8D
	v_mul_f32_e64 v54, -v142, s6                               // 00000000938C: D1050036 20000D8E
	v_mul_f32_e64 v55, -v143, s6                               // 000000009394: D1050037 20000D8F
	v_exp_f32_e32 v52, v52                                     // 00000000939C: 7E684134
	v_exp_f32_e32 v53, v53                                     // 0000000093A0: 7E6A4135
	v_exp_f32_e32 v54, v54                                     // 0000000093A4: 7E6C4136
	v_exp_f32_e32 v55, v55                                     // 0000000093A8: 7E6E4137
	buffer_load_dwordx4 a[28:31], v44, s[12:15], 0 offen       // 0000000093AC: E05C1000 80831C2C
	s_add_u32 s12, s78, s12                                    // 0000000093B4: 800C0C4E
	s_addc_u32 s13, 0, s13                                     // 0000000093B8: 820D0D80
	v_add_f32_e64 v52, v52, 1.0                                // 0000000093BC: D1010034 0001E534
	v_add_f32_e64 v53, v53, 1.0                                // 0000000093C4: D1010035 0001E535
	v_add_f32_e64 v54, v54, 1.0                                // 0000000093CC: D1010036 0001E536
	v_add_f32_e64 v55, v55, 1.0                                // 0000000093D4: D1010037 0001E537
	v_rcp_f32_e32 v52, v52                                     // 0000000093DC: 7E684534
	v_rcp_f32_e32 v53, v53                                     // 0000000093E0: 7E6A4535
	v_rcp_f32_e32 v54, v54                                     // 0000000093E4: 7E6C4536
	v_rcp_f32_e32 v55, v55                                     // 0000000093E8: 7E6E4537
	v_mul_f32_e32 v140, v140, v52                              // 0000000093EC: 0B18698C
	v_mul_f32_e32 v141, v141, v53                              // 0000000093F0: 0B1A6B8D
	v_mul_f32_e32 v142, v142, v54                              // 0000000093F4: 0B1C6D8E
	v_mul_f32_e32 v143, v143, v55                              // 0000000093F8: 0B1E6F8F
	v_mul_f32_e32 v140, v140, v76                              // 0000000093FC: 0B18998C
	v_mul_f32_e32 v141, v141, v77                              // 000000009400: 0B1A9B8D
	v_mul_f32_e32 v142, v142, v78                              // 000000009404: 0B1C9D8E
	v_mul_f32_e32 v143, v143, v79                              // 000000009408: 0B1E9F8F
	s_waitcnt vmcnt(24)                                        // 00000000940C: BF8C4F78
	buffer_load_dwordx4 a[32:35], v41, s[12:15], 0 offen       // 000000009410: E05C1000 80832029
	v_mul_f32_e64 v52, -v144, s6                               // 000000009418: D1050034 20000D90
	v_mul_f32_e64 v53, -v145, s6                               // 000000009420: D1050035 20000D91
	v_mul_f32_e64 v54, -v146, s6                               // 000000009428: D1050036 20000D92
	v_mul_f32_e64 v55, -v147, s6                               // 000000009430: D1050037 20000D93
	v_exp_f32_e32 v52, v52                                     // 000000009438: 7E684134
	v_exp_f32_e32 v53, v53                                     // 00000000943C: 7E6A4135
	v_exp_f32_e32 v54, v54                                     // 000000009440: 7E6C4136
	v_exp_f32_e32 v55, v55                                     // 000000009444: 7E6E4137
	buffer_load_dwordx4 a[36:39], v42, s[12:15], 0 offen       // 000000009448: E05C1000 8083242A
	v_add_f32_e64 v52, v52, 1.0                                // 000000009450: D1010034 0001E534
	v_add_f32_e64 v53, v53, 1.0                                // 000000009458: D1010035 0001E535
	v_add_f32_e64 v54, v54, 1.0                                // 000000009460: D1010036 0001E536
	v_add_f32_e64 v55, v55, 1.0                                // 000000009468: D1010037 0001E537
	v_rcp_f32_e32 v52, v52                                     // 000000009470: 7E684534
	v_rcp_f32_e32 v53, v53                                     // 000000009474: 7E6A4535
	v_rcp_f32_e32 v54, v54                                     // 000000009478: 7E6C4536
	v_rcp_f32_e32 v55, v55                                     // 00000000947C: 7E6E4537
	v_mul_f32_e32 v144, v144, v52                              // 000000009480: 0B206990
	v_mul_f32_e32 v145, v145, v53                              // 000000009484: 0B226B91
	v_mul_f32_e32 v146, v146, v54                              // 000000009488: 0B246D92
	v_mul_f32_e32 v147, v147, v55                              // 00000000948C: 0B266F93
	v_mul_f32_e32 v144, v144, v80                              // 000000009490: 0B20A190
	v_mul_f32_e32 v145, v145, v81                              // 000000009494: 0B22A391
	v_mul_f32_e32 v146, v146, v82                              // 000000009498: 0B24A592
	v_mul_f32_e32 v147, v147, v83                              // 00000000949C: 0B26A793
	buffer_load_dwordx4 a[40:43], v43, s[12:15], 0 offen       // 0000000094A0: E05C1000 8083282B
	v_mul_f32_e64 v52, -v148, s6                               // 0000000094A8: D1050034 20000D94
	v_mul_f32_e64 v53, -v149, s6                               // 0000000094B0: D1050035 20000D95
	v_mul_f32_e64 v54, -v150, s6                               // 0000000094B8: D1050036 20000D96
	v_mul_f32_e64 v55, -v151, s6                               // 0000000094C0: D1050037 20000D97
	v_exp_f32_e32 v52, v52                                     // 0000000094C8: 7E684134
	v_exp_f32_e32 v53, v53                                     // 0000000094CC: 7E6A4135
	v_exp_f32_e32 v54, v54                                     // 0000000094D0: 7E6C4136
	v_exp_f32_e32 v55, v55                                     // 0000000094D4: 7E6E4137
	buffer_load_dwordx4 a[44:47], v44, s[12:15], 0 offen       // 0000000094D8: E05C1000 80832C2C
	s_add_u32 s12, s78, s12                                    // 0000000094E0: 800C0C4E
	s_addc_u32 s13, 0, s13                                     // 0000000094E4: 820D0D80
	v_add_f32_e64 v52, v52, 1.0                                // 0000000094E8: D1010034 0001E534
	v_add_f32_e64 v53, v53, 1.0                                // 0000000094F0: D1010035 0001E535
	v_add_f32_e64 v54, v54, 1.0                                // 0000000094F8: D1010036 0001E536
	v_add_f32_e64 v55, v55, 1.0                                // 000000009500: D1010037 0001E537
	v_rcp_f32_e32 v52, v52                                     // 000000009508: 7E684534
	v_rcp_f32_e32 v53, v53                                     // 00000000950C: 7E6A4535
	v_rcp_f32_e32 v54, v54                                     // 000000009510: 7E6C4536
	v_rcp_f32_e32 v55, v55                                     // 000000009514: 7E6E4537
	v_mul_f32_e32 v148, v148, v52                              // 000000009518: 0B286994
	v_mul_f32_e32 v149, v149, v53                              // 00000000951C: 0B2A6B95
	v_mul_f32_e32 v150, v150, v54                              // 000000009520: 0B2C6D96
	v_mul_f32_e32 v151, v151, v55                              // 000000009524: 0B2E6F97
	v_mul_f32_e32 v148, v148, v84                              // 000000009528: 0B28A994
	v_mul_f32_e32 v149, v149, v85                              // 00000000952C: 0B2AAB95
	v_mul_f32_e32 v150, v150, v86                              // 000000009530: 0B2CAD96
	v_mul_f32_e32 v151, v151, v87                              // 000000009534: 0B2EAF97
	s_waitcnt vmcnt(24)                                        // 000000009538: BF8C4F78
	buffer_load_dwordx4 a[48:51], v41, s[12:15], 0 offen       // 00000000953C: E05C1000 80833029
	v_mul_f32_e64 v52, -v152, s6                               // 000000009544: D1050034 20000D98
	v_mul_f32_e64 v53, -v153, s6                               // 00000000954C: D1050035 20000D99
	v_mul_f32_e64 v54, -v154, s6                               // 000000009554: D1050036 20000D9A
	v_mul_f32_e64 v55, -v155, s6                               // 00000000955C: D1050037 20000D9B
	v_exp_f32_e32 v52, v52                                     // 000000009564: 7E684134
	v_exp_f32_e32 v53, v53                                     // 000000009568: 7E6A4135
	v_exp_f32_e32 v54, v54                                     // 00000000956C: 7E6C4136
	v_exp_f32_e32 v55, v55                                     // 000000009570: 7E6E4137
	buffer_load_dwordx4 a[52:55], v42, s[12:15], 0 offen       // 000000009574: E05C1000 8083342A
	v_add_f32_e64 v52, v52, 1.0                                // 00000000957C: D1010034 0001E534
	v_add_f32_e64 v53, v53, 1.0                                // 000000009584: D1010035 0001E535
	v_add_f32_e64 v54, v54, 1.0                                // 00000000958C: D1010036 0001E536
	v_add_f32_e64 v55, v55, 1.0                                // 000000009594: D1010037 0001E537
	v_rcp_f32_e32 v52, v52                                     // 00000000959C: 7E684534
	v_rcp_f32_e32 v53, v53                                     // 0000000095A0: 7E6A4535
	v_rcp_f32_e32 v54, v54                                     // 0000000095A4: 7E6C4536
	v_rcp_f32_e32 v55, v55                                     // 0000000095A8: 7E6E4537
	v_mul_f32_e32 v152, v152, v52                              // 0000000095AC: 0B306998
	v_mul_f32_e32 v153, v153, v53                              // 0000000095B0: 0B326B99
	v_mul_f32_e32 v154, v154, v54                              // 0000000095B4: 0B346D9A
	v_mul_f32_e32 v155, v155, v55                              // 0000000095B8: 0B366F9B
	v_mul_f32_e32 v152, v152, v88                              // 0000000095BC: 0B30B198
	v_mul_f32_e32 v153, v153, v89                              // 0000000095C0: 0B32B399
	v_mul_f32_e32 v154, v154, v90                              // 0000000095C4: 0B34B59A
	v_mul_f32_e32 v155, v155, v91                              // 0000000095C8: 0B36B79B
	buffer_load_dwordx4 a[56:59], v43, s[12:15], 0 offen       // 0000000095CC: E05C1000 8083382B
	v_mul_f32_e64 v52, -v156, s6                               // 0000000095D4: D1050034 20000D9C
	v_mul_f32_e64 v53, -v157, s6                               // 0000000095DC: D1050035 20000D9D
	v_mul_f32_e64 v54, -v158, s6                               // 0000000095E4: D1050036 20000D9E
	v_mul_f32_e64 v55, -v159, s6                               // 0000000095EC: D1050037 20000D9F
	v_exp_f32_e32 v52, v52                                     // 0000000095F4: 7E684134
	v_exp_f32_e32 v53, v53                                     // 0000000095F8: 7E6A4135
	v_exp_f32_e32 v54, v54                                     // 0000000095FC: 7E6C4136
	v_exp_f32_e32 v55, v55                                     // 000000009600: 7E6E4137
	buffer_load_dwordx4 a[60:63], v44, s[12:15], 0 offen       // 000000009604: E05C1000 80833C2C
	s_add_u32 s12, s78, s12                                    // 00000000960C: 800C0C4E
	s_addc_u32 s13, 0, s13                                     // 000000009610: 820D0D80
	v_add_f32_e64 v52, v52, 1.0                                // 000000009614: D1010034 0001E534
	v_add_f32_e64 v53, v53, 1.0                                // 00000000961C: D1010035 0001E535
	v_add_f32_e64 v54, v54, 1.0                                // 000000009624: D1010036 0001E536
	v_add_f32_e64 v55, v55, 1.0                                // 00000000962C: D1010037 0001E537
	v_rcp_f32_e32 v52, v52                                     // 000000009634: 7E684534
	v_rcp_f32_e32 v53, v53                                     // 000000009638: 7E6A4535
	v_rcp_f32_e32 v54, v54                                     // 00000000963C: 7E6C4536
	v_rcp_f32_e32 v55, v55                                     // 000000009640: 7E6E4537
	v_mul_f32_e32 v156, v156, v52                              // 000000009644: 0B38699C
	v_mul_f32_e32 v157, v157, v53                              // 000000009648: 0B3A6B9D
	v_mul_f32_e32 v158, v158, v54                              // 00000000964C: 0B3C6D9E
	v_mul_f32_e32 v159, v159, v55                              // 000000009650: 0B3E6F9F
	v_mul_f32_e32 v156, v156, v92                              // 000000009654: 0B38B99C
	v_mul_f32_e32 v157, v157, v93                              // 000000009658: 0B3ABB9D
	v_mul_f32_e32 v158, v158, v94                              // 00000000965C: 0B3CBD9E
	v_mul_f32_e32 v159, v159, v95                              // 000000009660: 0B3EBF9F
	s_waitcnt vmcnt(24)                                        // 000000009664: BF8C4F78
	buffer_load_dwordx4 a[64:67], v41, s[12:15], 0 offen       // 000000009668: E05C1000 80834029
	v_mul_f32_e64 v52, -v160, s6                               // 000000009670: D1050034 20000DA0
	v_mul_f32_e64 v53, -v161, s6                               // 000000009678: D1050035 20000DA1
	v_mul_f32_e64 v54, -v162, s6                               // 000000009680: D1050036 20000DA2
	v_mul_f32_e64 v55, -v163, s6                               // 000000009688: D1050037 20000DA3
	v_exp_f32_e32 v52, v52                                     // 000000009690: 7E684134
	v_exp_f32_e32 v53, v53                                     // 000000009694: 7E6A4135
	v_exp_f32_e32 v54, v54                                     // 000000009698: 7E6C4136
	v_exp_f32_e32 v55, v55                                     // 00000000969C: 7E6E4137
	buffer_load_dwordx4 a[68:71], v42, s[12:15], 0 offen       // 0000000096A0: E05C1000 8083442A
	v_add_f32_e64 v52, v52, 1.0                                // 0000000096A8: D1010034 0001E534
	v_add_f32_e64 v53, v53, 1.0                                // 0000000096B0: D1010035 0001E535
	v_add_f32_e64 v54, v54, 1.0                                // 0000000096B8: D1010036 0001E536
	v_add_f32_e64 v55, v55, 1.0                                // 0000000096C0: D1010037 0001E537
	v_rcp_f32_e32 v52, v52                                     // 0000000096C8: 7E684534
	v_rcp_f32_e32 v53, v53                                     // 0000000096CC: 7E6A4535
	v_rcp_f32_e32 v54, v54                                     // 0000000096D0: 7E6C4536
	v_rcp_f32_e32 v55, v55                                     // 0000000096D4: 7E6E4537
	v_mul_f32_e32 v160, v160, v52                              // 0000000096D8: 0B4069A0
	v_mul_f32_e32 v161, v161, v53                              // 0000000096DC: 0B426BA1
	v_mul_f32_e32 v162, v162, v54                              // 0000000096E0: 0B446DA2
	v_mul_f32_e32 v163, v163, v55                              // 0000000096E4: 0B466FA3
	v_mul_f32_e32 v160, v160, v96                              // 0000000096E8: 0B40C1A0
	v_mul_f32_e32 v161, v161, v97                              // 0000000096EC: 0B42C3A1
	v_mul_f32_e32 v162, v162, v98                              // 0000000096F0: 0B44C5A2
	v_mul_f32_e32 v163, v163, v99                              // 0000000096F4: 0B46C7A3
	buffer_load_dwordx4 a[72:75], v43, s[12:15], 0 offen       // 0000000096F8: E05C1000 8083482B
	v_mul_f32_e64 v52, -v164, s6                               // 000000009700: D1050034 20000DA4
	v_mul_f32_e64 v53, -v165, s6                               // 000000009708: D1050035 20000DA5
	v_mul_f32_e64 v54, -v166, s6                               // 000000009710: D1050036 20000DA6
	v_mul_f32_e64 v55, -v167, s6                               // 000000009718: D1050037 20000DA7
	v_exp_f32_e32 v52, v52                                     // 000000009720: 7E684134
	v_exp_f32_e32 v53, v53                                     // 000000009724: 7E6A4135
	v_exp_f32_e32 v54, v54                                     // 000000009728: 7E6C4136
	v_exp_f32_e32 v55, v55                                     // 00000000972C: 7E6E4137
	buffer_load_dwordx4 a[76:79], v44, s[12:15], 0 offen       // 000000009730: E05C1000 80834C2C
	s_add_u32 s12, s78, s12                                    // 000000009738: 800C0C4E
	s_addc_u32 s13, 0, s13                                     // 00000000973C: 820D0D80
	v_add_f32_e64 v52, v52, 1.0                                // 000000009740: D1010034 0001E534
	v_add_f32_e64 v53, v53, 1.0                                // 000000009748: D1010035 0001E535
	v_add_f32_e64 v54, v54, 1.0                                // 000000009750: D1010036 0001E536
	v_add_f32_e64 v55, v55, 1.0                                // 000000009758: D1010037 0001E537
	v_rcp_f32_e32 v52, v52                                     // 000000009760: 7E684534
	v_rcp_f32_e32 v53, v53                                     // 000000009764: 7E6A4535
	v_rcp_f32_e32 v54, v54                                     // 000000009768: 7E6C4536
	v_rcp_f32_e32 v55, v55                                     // 00000000976C: 7E6E4537
	v_mul_f32_e32 v164, v164, v52                              // 000000009770: 0B4869A4
	v_mul_f32_e32 v165, v165, v53                              // 000000009774: 0B4A6BA5
	v_mul_f32_e32 v166, v166, v54                              // 000000009778: 0B4C6DA6
	v_mul_f32_e32 v167, v167, v55                              // 00000000977C: 0B4E6FA7
	v_mul_f32_e32 v164, v164, v100                             // 000000009780: 0B48C9A4
	v_mul_f32_e32 v165, v165, v101                             // 000000009784: 0B4ACBA5
	v_mul_f32_e32 v166, v166, v102                             // 000000009788: 0B4CCDA6
	v_mul_f32_e32 v167, v167, v103                             // 00000000978C: 0B4ECFA7
	s_waitcnt vmcnt(24)                                        // 000000009790: BF8C4F78
	buffer_load_dwordx4 a[80:83], v41, s[12:15], 0 offen       // 000000009794: E05C1000 80835029
	v_mul_f32_e64 v52, -v168, s6                               // 00000000979C: D1050034 20000DA8
	v_mul_f32_e64 v53, -v169, s6                               // 0000000097A4: D1050035 20000DA9
	v_mul_f32_e64 v54, -v170, s6                               // 0000000097AC: D1050036 20000DAA
	v_mul_f32_e64 v55, -v171, s6                               // 0000000097B4: D1050037 20000DAB
	v_exp_f32_e32 v52, v52                                     // 0000000097BC: 7E684134
	v_exp_f32_e32 v53, v53                                     // 0000000097C0: 7E6A4135
	v_exp_f32_e32 v54, v54                                     // 0000000097C4: 7E6C4136
	v_exp_f32_e32 v55, v55                                     // 0000000097C8: 7E6E4137
	buffer_load_dwordx4 a[84:87], v42, s[12:15], 0 offen       // 0000000097CC: E05C1000 8083542A
	v_add_f32_e64 v52, v52, 1.0                                // 0000000097D4: D1010034 0001E534
	v_add_f32_e64 v53, v53, 1.0                                // 0000000097DC: D1010035 0001E535
	v_add_f32_e64 v54, v54, 1.0                                // 0000000097E4: D1010036 0001E536
	v_add_f32_e64 v55, v55, 1.0                                // 0000000097EC: D1010037 0001E537
	v_rcp_f32_e32 v52, v52                                     // 0000000097F4: 7E684534
	v_rcp_f32_e32 v53, v53                                     // 0000000097F8: 7E6A4535
	v_rcp_f32_e32 v54, v54                                     // 0000000097FC: 7E6C4536
	v_rcp_f32_e32 v55, v55                                     // 000000009800: 7E6E4537
	v_mul_f32_e32 v168, v168, v52                              // 000000009804: 0B5069A8
	v_mul_f32_e32 v169, v169, v53                              // 000000009808: 0B526BA9
	v_mul_f32_e32 v170, v170, v54                              // 00000000980C: 0B546DAA
	v_mul_f32_e32 v171, v171, v55                              // 000000009810: 0B566FAB
	v_mul_f32_e32 v168, v168, v104                             // 000000009814: 0B50D1A8
	v_mul_f32_e32 v169, v169, v105                             // 000000009818: 0B52D3A9
	v_mul_f32_e32 v170, v170, v106                             // 00000000981C: 0B54D5AA
	v_mul_f32_e32 v171, v171, v107                             // 000000009820: 0B56D7AB
	buffer_load_dwordx4 a[88:91], v43, s[12:15], 0 offen       // 000000009824: E05C1000 8083582B
	v_mul_f32_e64 v52, -v172, s6                               // 00000000982C: D1050034 20000DAC
	v_mul_f32_e64 v53, -v173, s6                               // 000000009834: D1050035 20000DAD
	v_mul_f32_e64 v54, -v174, s6                               // 00000000983C: D1050036 20000DAE
	v_mul_f32_e64 v55, -v175, s6                               // 000000009844: D1050037 20000DAF
	v_exp_f32_e32 v52, v52                                     // 00000000984C: 7E684134
	v_exp_f32_e32 v53, v53                                     // 000000009850: 7E6A4135
	v_exp_f32_e32 v54, v54                                     // 000000009854: 7E6C4136
	v_exp_f32_e32 v55, v55                                     // 000000009858: 7E6E4137
	buffer_load_dwordx4 a[92:95], v44, s[12:15], 0 offen       // 00000000985C: E05C1000 80835C2C
	s_add_u32 s12, s78, s12                                    // 000000009864: 800C0C4E
	s_addc_u32 s13, 0, s13                                     // 000000009868: 820D0D80
	v_add_f32_e64 v52, v52, 1.0                                // 00000000986C: D1010034 0001E534
	v_add_f32_e64 v53, v53, 1.0                                // 000000009874: D1010035 0001E535
	v_add_f32_e64 v54, v54, 1.0                                // 00000000987C: D1010036 0001E536
	v_add_f32_e64 v55, v55, 1.0                                // 000000009884: D1010037 0001E537
	v_rcp_f32_e32 v52, v52                                     // 00000000988C: 7E684534
	v_rcp_f32_e32 v53, v53                                     // 000000009890: 7E6A4535
	v_rcp_f32_e32 v54, v54                                     // 000000009894: 7E6C4536
	v_rcp_f32_e32 v55, v55                                     // 000000009898: 7E6E4537
	v_mul_f32_e32 v172, v172, v52                              // 00000000989C: 0B5869AC
	v_mul_f32_e32 v173, v173, v53                              // 0000000098A0: 0B5A6BAD
	v_mul_f32_e32 v174, v174, v54                              // 0000000098A4: 0B5C6DAE
	v_mul_f32_e32 v175, v175, v55                              // 0000000098A8: 0B5E6FAF
	v_mul_f32_e32 v172, v172, v108                             // 0000000098AC: 0B58D9AC
	v_mul_f32_e32 v173, v173, v109                             // 0000000098B0: 0B5ADBAD
	v_mul_f32_e32 v174, v174, v110                             // 0000000098B4: 0B5CDDAE
	v_mul_f32_e32 v175, v175, v111                             // 0000000098B8: 0B5EDFAF
	s_waitcnt vmcnt(24)                                        // 0000000098BC: BF8C4F78
	buffer_load_dwordx4 a[96:99], v41, s[12:15], 0 offen       // 0000000098C0: E05C1000 80836029
	v_mul_f32_e64 v52, -v176, s6                               // 0000000098C8: D1050034 20000DB0
	v_mul_f32_e64 v53, -v177, s6                               // 0000000098D0: D1050035 20000DB1
	v_mul_f32_e64 v54, -v178, s6                               // 0000000098D8: D1050036 20000DB2
	v_mul_f32_e64 v55, -v179, s6                               // 0000000098E0: D1050037 20000DB3
	v_exp_f32_e32 v52, v52                                     // 0000000098E8: 7E684134
	v_exp_f32_e32 v53, v53                                     // 0000000098EC: 7E6A4135
	v_exp_f32_e32 v54, v54                                     // 0000000098F0: 7E6C4136
	v_exp_f32_e32 v55, v55                                     // 0000000098F4: 7E6E4137
	buffer_load_dwordx4 a[100:103], v42, s[12:15], 0 offen     // 0000000098F8: E05C1000 8083642A
	v_add_f32_e64 v52, v52, 1.0                                // 000000009900: D1010034 0001E534
	v_add_f32_e64 v53, v53, 1.0                                // 000000009908: D1010035 0001E535
	v_add_f32_e64 v54, v54, 1.0                                // 000000009910: D1010036 0001E536
	v_add_f32_e64 v55, v55, 1.0                                // 000000009918: D1010037 0001E537
	v_rcp_f32_e32 v52, v52                                     // 000000009920: 7E684534
	v_rcp_f32_e32 v53, v53                                     // 000000009924: 7E6A4535
	v_rcp_f32_e32 v54, v54                                     // 000000009928: 7E6C4536
	v_rcp_f32_e32 v55, v55                                     // 00000000992C: 7E6E4537
	v_mul_f32_e32 v176, v176, v52                              // 000000009930: 0B6069B0
	v_mul_f32_e32 v177, v177, v53                              // 000000009934: 0B626BB1
	v_mul_f32_e32 v178, v178, v54                              // 000000009938: 0B646DB2
	v_mul_f32_e32 v179, v179, v55                              // 00000000993C: 0B666FB3
	v_mul_f32_e32 v176, v176, v112                             // 000000009940: 0B60E1B0
	v_mul_f32_e32 v177, v177, v113                             // 000000009944: 0B62E3B1
	v_mul_f32_e32 v178, v178, v114                             // 000000009948: 0B64E5B2
	v_mul_f32_e32 v179, v179, v115                             // 00000000994C: 0B66E7B3
	buffer_load_dwordx4 a[104:107], v43, s[12:15], 0 offen     // 000000009950: E05C1000 8083682B
	v_mul_f32_e64 v52, -v180, s6                               // 000000009958: D1050034 20000DB4
	v_mul_f32_e64 v53, -v181, s6                               // 000000009960: D1050035 20000DB5
	v_mul_f32_e64 v54, -v182, s6                               // 000000009968: D1050036 20000DB6
	v_mul_f32_e64 v55, -v183, s6                               // 000000009970: D1050037 20000DB7
	v_exp_f32_e32 v52, v52                                     // 000000009978: 7E684134
	v_exp_f32_e32 v53, v53                                     // 00000000997C: 7E6A4135
	v_exp_f32_e32 v54, v54                                     // 000000009980: 7E6C4136
	v_exp_f32_e32 v55, v55                                     // 000000009984: 7E6E4137
	buffer_load_dwordx4 a[108:111], v44, s[12:15], 0 offen     // 000000009988: E05C1000 80836C2C
	v_add_f32_e64 v52, v52, 1.0                                // 000000009990: D1010034 0001E534
	v_add_f32_e64 v53, v53, 1.0                                // 000000009998: D1010035 0001E535
	v_add_f32_e64 v54, v54, 1.0                                // 0000000099A0: D1010036 0001E536
	v_add_f32_e64 v55, v55, 1.0                                // 0000000099A8: D1010037 0001E537
	v_rcp_f32_e32 v52, v52                                     // 0000000099B0: 7E684534
	v_rcp_f32_e32 v53, v53                                     // 0000000099B4: 7E6A4535
	v_rcp_f32_e32 v54, v54                                     // 0000000099B8: 7E6C4536
	v_rcp_f32_e32 v55, v55                                     // 0000000099BC: 7E6E4537
	v_mul_f32_e32 v180, v180, v52                              // 0000000099C0: 0B6869B4
	v_mul_f32_e32 v181, v181, v53                              // 0000000099C4: 0B6A6BB5
	v_mul_f32_e32 v182, v182, v54                              // 0000000099C8: 0B6C6DB6
	v_mul_f32_e32 v183, v183, v55                              // 0000000099CC: 0B6E6FB7
	v_mul_f32_e32 v180, v180, v116                             // 0000000099D0: 0B68E9B4
	v_mul_f32_e32 v181, v181, v117                             // 0000000099D4: 0B6AEBB5
	v_mul_f32_e32 v182, v182, v118                             // 0000000099D8: 0B6CEDB6
	v_mul_f32_e32 v183, v183, v119                             // 0000000099DC: 0B6EEFB7
	v_mul_f32_dpp v128, v18, v128 row_newbcast:0 row_mask:0xf bank_mask:0xf// 0000000099E0: 0B0100FA FF015012
	v_mul_f32_dpp v129, v18, v129 row_newbcast:1 row_mask:0xf bank_mask:0xf// 0000000099E8: 0B0302FA FF015112
	v_mul_f32_dpp v130, v18, v130 row_newbcast:2 row_mask:0xf bank_mask:0xf// 0000000099F0: 0B0504FA FF015212
	v_mul_f32_dpp v131, v18, v131 row_newbcast:3 row_mask:0xf bank_mask:0xf// 0000000099F8: 0B0706FA FF015312
	v_mul_f32_dpp v132, v18, v132 row_newbcast:0 row_mask:0xf bank_mask:0xf// 000000009A00: 0B0908FA FF015012
	v_mul_f32_dpp v133, v18, v133 row_newbcast:1 row_mask:0xf bank_mask:0xf// 000000009A08: 0B0B0AFA FF015112
	v_mul_f32_dpp v134, v18, v134 row_newbcast:2 row_mask:0xf bank_mask:0xf// 000000009A10: 0B0D0CFA FF015212
	v_mul_f32_dpp v135, v18, v135 row_newbcast:3 row_mask:0xf bank_mask:0xf// 000000009A18: 0B0F0EFA FF015312
	v_mul_f32_dpp v136, v18, v136 row_newbcast:4 row_mask:0xf bank_mask:0xf// 000000009A20: 0B1110FA FF015412
	v_mul_f32_dpp v137, v18, v137 row_newbcast:5 row_mask:0xf bank_mask:0xf// 000000009A28: 0B1312FA FF015512
	v_mul_f32_dpp v138, v18, v138 row_newbcast:6 row_mask:0xf bank_mask:0xf// 000000009A30: 0B1514FA FF015612
	v_mul_f32_dpp v139, v18, v139 row_newbcast:7 row_mask:0xf bank_mask:0xf// 000000009A38: 0B1716FA FF015712
	v_mul_f32_dpp v140, v18, v140 row_newbcast:4 row_mask:0xf bank_mask:0xf// 000000009A40: 0B1918FA FF015412
	v_mul_f32_dpp v141, v18, v141 row_newbcast:5 row_mask:0xf bank_mask:0xf// 000000009A48: 0B1B1AFA FF015512
	v_mul_f32_dpp v142, v18, v142 row_newbcast:6 row_mask:0xf bank_mask:0xf// 000000009A50: 0B1D1CFA FF015612
	v_mul_f32_dpp v143, v18, v143 row_newbcast:7 row_mask:0xf bank_mask:0xf// 000000009A58: 0B1F1EFA FF015712
	v_mul_f32_dpp v144, v18, v144 row_newbcast:8 row_mask:0xf bank_mask:0xf// 000000009A60: 0B2120FA FF015812
	v_mul_f32_dpp v145, v18, v145 row_newbcast:9 row_mask:0xf bank_mask:0xf// 000000009A68: 0B2322FA FF015912
	v_mul_f32_dpp v146, v18, v146 row_newbcast:10 row_mask:0xf bank_mask:0xf// 000000009A70: 0B2524FA FF015A12
	v_mul_f32_dpp v147, v18, v147 row_newbcast:11 row_mask:0xf bank_mask:0xf// 000000009A78: 0B2726FA FF015B12
	v_mul_f32_dpp v148, v18, v148 row_newbcast:8 row_mask:0xf bank_mask:0xf// 000000009A80: 0B2928FA FF015812
	v_mul_f32_dpp v149, v18, v149 row_newbcast:9 row_mask:0xf bank_mask:0xf// 000000009A88: 0B2B2AFA FF015912
	v_mul_f32_dpp v150, v18, v150 row_newbcast:10 row_mask:0xf bank_mask:0xf// 000000009A90: 0B2D2CFA FF015A12
	v_mul_f32_dpp v151, v18, v151 row_newbcast:11 row_mask:0xf bank_mask:0xf// 000000009A98: 0B2F2EFA FF015B12
	v_mul_f32_dpp v152, v18, v152 row_newbcast:12 row_mask:0xf bank_mask:0xf// 000000009AA0: 0B3130FA FF015C12
	v_mul_f32_dpp v153, v18, v153 row_newbcast:13 row_mask:0xf bank_mask:0xf// 000000009AA8: 0B3332FA FF015D12
	v_mul_f32_dpp v154, v18, v154 row_newbcast:14 row_mask:0xf bank_mask:0xf// 000000009AB0: 0B3534FA FF015E12
	v_mul_f32_dpp v155, v18, v155 row_newbcast:15 row_mask:0xf bank_mask:0xf// 000000009AB8: 0B3736FA FF015F12
	v_mul_f32_dpp v156, v18, v156 row_newbcast:12 row_mask:0xf bank_mask:0xf// 000000009AC0: 0B3938FA FF015C12
	v_mul_f32_dpp v157, v18, v157 row_newbcast:13 row_mask:0xf bank_mask:0xf// 000000009AC8: 0B3B3AFA FF015D12
	v_mul_f32_dpp v158, v18, v158 row_newbcast:14 row_mask:0xf bank_mask:0xf// 000000009AD0: 0B3D3CFA FF015E12
	v_mul_f32_dpp v159, v18, v159 row_newbcast:15 row_mask:0xf bank_mask:0xf// 000000009AD8: 0B3F3EFA FF015F12
	v_mul_f32_dpp v160, v19, v160 row_newbcast:0 row_mask:0xf bank_mask:0xf// 000000009AE0: 0B4140FA FF015013
	v_mul_f32_dpp v161, v19, v161 row_newbcast:1 row_mask:0xf bank_mask:0xf// 000000009AE8: 0B4342FA FF015113
	v_mul_f32_dpp v162, v19, v162 row_newbcast:2 row_mask:0xf bank_mask:0xf// 000000009AF0: 0B4544FA FF015213
	v_mul_f32_dpp v163, v19, v163 row_newbcast:3 row_mask:0xf bank_mask:0xf// 000000009AF8: 0B4746FA FF015313
	v_mul_f32_dpp v164, v19, v164 row_newbcast:0 row_mask:0xf bank_mask:0xf// 000000009B00: 0B4948FA FF015013
	v_mul_f32_dpp v165, v19, v165 row_newbcast:1 row_mask:0xf bank_mask:0xf// 000000009B08: 0B4B4AFA FF015113
	v_mul_f32_dpp v166, v19, v166 row_newbcast:2 row_mask:0xf bank_mask:0xf// 000000009B10: 0B4D4CFA FF015213
	v_mul_f32_dpp v167, v19, v167 row_newbcast:3 row_mask:0xf bank_mask:0xf// 000000009B18: 0B4F4EFA FF015313
	v_mul_f32_dpp v168, v19, v168 row_newbcast:4 row_mask:0xf bank_mask:0xf// 000000009B20: 0B5150FA FF015413
	v_mul_f32_dpp v169, v19, v169 row_newbcast:5 row_mask:0xf bank_mask:0xf// 000000009B28: 0B5352FA FF015513
	v_mul_f32_dpp v170, v19, v170 row_newbcast:6 row_mask:0xf bank_mask:0xf// 000000009B30: 0B5554FA FF015613
	v_mul_f32_dpp v171, v19, v171 row_newbcast:7 row_mask:0xf bank_mask:0xf// 000000009B38: 0B5756FA FF015713
	v_mul_f32_dpp v172, v19, v172 row_newbcast:4 row_mask:0xf bank_mask:0xf// 000000009B40: 0B5958FA FF015413
	v_mul_f32_dpp v173, v19, v173 row_newbcast:5 row_mask:0xf bank_mask:0xf// 000000009B48: 0B5B5AFA FF015513
	v_mul_f32_dpp v174, v19, v174 row_newbcast:6 row_mask:0xf bank_mask:0xf// 000000009B50: 0B5D5CFA FF015613
	v_mul_f32_dpp v175, v19, v175 row_newbcast:7 row_mask:0xf bank_mask:0xf// 000000009B58: 0B5F5EFA FF015713
	v_mul_f32_dpp v176, v19, v176 row_newbcast:8 row_mask:0xf bank_mask:0xf// 000000009B60: 0B6160FA FF015813
	v_mul_f32_dpp v177, v19, v177 row_newbcast:9 row_mask:0xf bank_mask:0xf// 000000009B68: 0B6362FA FF015913
	v_mul_f32_dpp v178, v19, v178 row_newbcast:10 row_mask:0xf bank_mask:0xf// 000000009B70: 0B6564FA FF015A13
	v_mul_f32_dpp v179, v19, v179 row_newbcast:11 row_mask:0xf bank_mask:0xf// 000000009B78: 0B6766FA FF015B13
	v_mul_f32_dpp v180, v19, v180 row_newbcast:8 row_mask:0xf bank_mask:0xf// 000000009B80: 0B6968FA FF015813
	v_mul_f32_dpp v181, v19, v181 row_newbcast:9 row_mask:0xf bank_mask:0xf// 000000009B88: 0B6B6AFA FF015913
	v_mul_f32_dpp v182, v19, v182 row_newbcast:10 row_mask:0xf bank_mask:0xf// 000000009B90: 0B6D6CFA FF015A13
	v_mul_f32_dpp v183, v19, v183 row_newbcast:11 row_mask:0xf bank_mask:0xf// 000000009B98: 0B6F6EFA FF015B13
	v_lshlrev_b32_e32 v52, 2, v0                               // 000000009BA0: 24680082
	s_mul_i32 s60, s82, s71                                    // 000000009BA4: 923C4752
	v_add_u32_e64 v80, v52, s60                                // 000000009BA8: D1340050 00007934
	v_mov_b32_e32 v81, 0                                       // 000000009BB0: 7EA20280
	s_mul_i32 s60, s83, s71                                    // 000000009BB4: 923C4753
	v_add_u32_e64 v82, v52, s60                                // 000000009BB8: D1340052 00007934
	v_mov_b32_e32 v83, 0                                       // 000000009BC0: 7EA60280
	s_mul_i32 s60, s84, s71                                    // 000000009BC4: 923C4754
	v_add_u32_e64 v84, v52, s60                                // 000000009BC8: D1340054 00007934
	v_mov_b32_e32 v85, 0                                       // 000000009BD0: 7EAA0280
	s_mul_i32 s60, s85, s71                                    // 000000009BD4: 923C4755
	v_add_u32_e64 v86, v52, s60                                // 000000009BD8: D1340056 00007934
	v_mov_b32_e32 v87, 0                                       // 000000009BE0: 7EAE0280
	s_mul_i32 s60, s86, s71                                    // 000000009BE4: 923C4756
	v_add_u32_e64 v88, v52, s60                                // 000000009BE8: D1340058 00007934
	v_mov_b32_e32 v89, 0                                       // 000000009BF0: 7EB20280
	s_mul_i32 s60, s87, s71                                    // 000000009BF4: 923C4757
	v_add_u32_e64 v90, v52, s60                                // 000000009BF8: D134005A 00007934
	v_mov_b32_e32 v91, 0                                       // 000000009C00: 7EB60280
	s_mul_i32 s60, s88, s71                                    // 000000009C04: 923C4758
	v_add_u32_e64 v92, v52, s60                                // 000000009C08: D134005C 00007934
	v_mov_b32_e32 v93, 0                                       // 000000009C10: 7EBA0280
	s_mul_i32 s60, s89, s71                                    // 000000009C14: 923C4759
	v_add_u32_e64 v94, v52, s60                                // 000000009C18: D134005E 00007934
	v_mov_b32_e32 v95, 0                                       // 000000009C20: 7EBE0280
	buffer_load_dword v12, v5, s[16:19], 0 offen               // 000000009C24: E0501000 80040C05
	v_mov_b32_e32 v22, 0x358637bd                              // 000000009C2C: 7E2C02FF 358637BD
	v_mov_b32_e32 v23, 0x358637bd                              // 000000009C34: 7E2E02FF 358637BD
	v_max3_f32 v22, |v128|, |v129|, v22                        // 000000009C3C: D1D30316 045B0380
	v_max3_f32 v22, |v130|, |v131|, v22                        // 000000009C44: D1D30316 045B0782
	v_max3_f32 v23, |v132|, |v133|, v23                        // 000000009C4C: D1D30317 045F0B84
	v_max3_f32 v23, |v134|, |v135|, v23                        // 000000009C54: D1D30317 045F0F86
	v_max3_f32 v22, |v136|, |v137|, v22                        // 000000009C5C: D1D30316 045B1388
	v_max3_f32 v22, |v138|, |v139|, v22                        // 000000009C64: D1D30316 045B178A
	v_max3_f32 v23, |v140|, |v141|, v23                        // 000000009C6C: D1D30317 045F1B8C
	v_max3_f32 v23, |v142|, |v143|, v23                        // 000000009C74: D1D30317 045F1F8E
	v_max3_f32 v22, |v144|, |v145|, v22                        // 000000009C7C: D1D30316 045B2390
	v_max3_f32 v22, |v146|, |v147|, v22                        // 000000009C84: D1D30316 045B2792
	v_max3_f32 v23, |v148|, |v149|, v23                        // 000000009C8C: D1D30317 045F2B94
	v_max3_f32 v23, |v150|, |v151|, v23                        // 000000009C94: D1D30317 045F2F96
	v_max3_f32 v22, |v152|, |v153|, v22                        // 000000009C9C: D1D30316 045B3398
	v_max3_f32 v22, |v154|, |v155|, v22                        // 000000009CA4: D1D30316 045B379A
	v_max3_f32 v23, |v156|, |v157|, v23                        // 000000009CAC: D1D30317 045F3B9C
	v_max3_f32 v23, |v158|, |v159|, v23                        // 000000009CB4: D1D30317 045F3F9E
	v_max3_f32 v22, |v160|, |v161|, v22                        // 000000009CBC: D1D30316 045B43A0
	v_max3_f32 v22, |v162|, |v163|, v22                        // 000000009CC4: D1D30316 045B47A2
	v_max3_f32 v23, |v164|, |v165|, v23                        // 000000009CCC: D1D30317 045F4BA4
	v_max3_f32 v23, |v166|, |v167|, v23                        // 000000009CD4: D1D30317 045F4FA6
	v_max3_f32 v22, |v168|, |v169|, v22                        // 000000009CDC: D1D30316 045B53A8
	v_max3_f32 v22, |v170|, |v171|, v22                        // 000000009CE4: D1D30316 045B57AA
	v_max3_f32 v23, |v172|, |v173|, v23                        // 000000009CEC: D1D30317 045F5BAC
	v_max3_f32 v23, |v174|, |v175|, v23                        // 000000009CF4: D1D30317 045F5FAE
	v_max3_f32 v22, |v176|, |v177|, v22                        // 000000009CFC: D1D30316 045B63B0
	v_max3_f32 v22, |v178|, |v179|, v22                        // 000000009D04: D1D30316 045B67B2
	v_max3_f32 v23, |v180|, |v181|, v23                        // 000000009D0C: D1D30317 045F6BB4
	v_max3_f32 v23, |v182|, |v183|, v23                        // 000000009D14: D1D30317 045F6FB6
	v_lshlrev_b32_e32 v52, 3, v0                               // 000000009D1C: 24680083
	s_mul_i32 s60, 0x200, s7                                   // 000000009D20: 923C07FF 00000200
	v_add_u32_e32 v52, s60, v52                                // 000000009D28: 6868683C
	ds_write_b64 v52, v[22:23] offset:16640                    // 000000009D2C: D89A4100 00001634
	s_waitcnt lgkmcnt(0)                                       // 000000009D34: BF8CC07F
	s_barrier                                                  // 000000009D38: BF8A0000
	v_and_b32_e32 v52, 15, v0                                  // 000000009D3C: 2668008F
	v_lshlrev_b32_e32 v52, 3, v52                              // 000000009D40: 24686883
	ds_read_b64 v[96:97], v52 offset:16640                     // 000000009D44: D8EC4100 60000034
	ds_read_b64 v[98:99], v52 offset:16768                     // 000000009D4C: D8EC4180 62000034
	ds_read_b64 v[100:101], v52 offset:16896                   // 000000009D54: D8EC4200 64000034
	ds_read_b64 v[102:103], v52 offset:17024                   // 000000009D5C: D8EC4280 66000034
	ds_read_b64 v[104:105], v52 offset:17152                   // 000000009D64: D8EC4300 68000034
	ds_read_b64 v[106:107], v52 offset:17280                   // 000000009D6C: D8EC4380 6A000034
	ds_read_b64 v[108:109], v52 offset:17408                   // 000000009D74: D8EC4400 6C000034
	ds_read_b64 v[110:111], v52 offset:17536                   // 000000009D7C: D8EC4480 6E000034
	ds_read_b64 v[112:113], v52 offset:17664                   // 000000009D84: D8EC4500 70000034
	ds_read_b64 v[114:115], v52 offset:17792                   // 000000009D8C: D8EC4580 72000034
	ds_read_b64 v[116:117], v52 offset:17920                   // 000000009D94: D8EC4600 74000034
	ds_read_b64 v[118:119], v52 offset:18048                   // 000000009D9C: D8EC4680 76000034
	ds_read_b64 v[120:121], v52 offset:18176                   // 000000009DA4: D8EC4700 78000034
	ds_read_b64 v[122:123], v52 offset:18304                   // 000000009DAC: D8EC4780 7A000034
	ds_read_b64 v[124:125], v52 offset:18432                   // 000000009DB4: D8EC4800 7C000034
	ds_read_b64 v[126:127], v52 offset:18560                   // 000000009DBC: D8EC4880 7E000034
	s_waitcnt lgkmcnt(0)                                       // 000000009DC4: BF8CC07F
	v_max3_f32 v22, |v96|, |v98|, v22                          // 000000009DC8: D1D30316 045AC560
	v_max3_f32 v23, |v97|, |v99|, v23                          // 000000009DD0: D1D30317 045EC761
	v_max3_f32 v22, |v100|, |v102|, v22                        // 000000009DD8: D1D30316 045ACD64
	v_max3_f32 v23, |v101|, |v103|, v23                        // 000000009DE0: D1D30317 045ECF65
	v_max3_f32 v22, |v104|, |v106|, v22                        // 000000009DE8: D1D30316 045AD568
	v_max3_f32 v23, |v105|, |v107|, v23                        // 000000009DF0: D1D30317 045ED769
	v_max3_f32 v22, |v108|, |v110|, v22                        // 000000009DF8: D1D30316 045ADD6C
	v_max3_f32 v23, |v109|, |v111|, v23                        // 000000009E00: D1D30317 045EDF6D
	v_max3_f32 v22, |v112|, |v114|, v22                        // 000000009E08: D1D30316 045AE570
	v_max3_f32 v23, |v113|, |v115|, v23                        // 000000009E10: D1D30317 045EE771
	v_max3_f32 v22, |v116|, |v118|, v22                        // 000000009E18: D1D30316 045AED74
	v_max3_f32 v23, |v117|, |v119|, v23                        // 000000009E20: D1D30317 045EEF75
	v_max3_f32 v22, |v120|, |v122|, v22                        // 000000009E28: D1D30316 045AF578
	v_max3_f32 v23, |v121|, |v123|, v23                        // 000000009E30: D1D30317 045EF779
	v_max3_f32 v22, |v124|, |v126|, v22                        // 000000009E38: D1D30316 045AFD7C
	v_max3_f32 v23, |v125|, |v127|, v23                        // 000000009E40: D1D30317 045EFF7D
	v_rcp_f32_e32 v22, v22                                     // 000000009E48: 7E2C4516
	v_rcp_f32_e32 v23, v23                                     // 000000009E4C: 7E2E4517
	v_mov_b32_e32 v52, 0x43700000                              // 000000009E50: 7E6802FF 43700000
	v_mul_f32_e32 v22, v52, v22                                // 000000009E58: 0A2C2D34
	v_mul_f32_e32 v23, v52, v23                                // 000000009E5C: 0A2E2F34
	v_mul_f32_e32 v128, v22, v128                              // 000000009E60: 0B010116
	v_mul_f32_e32 v129, v22, v129                              // 000000009E64: 0B030316
	v_mul_f32_e32 v130, v22, v130                              // 000000009E68: 0B050516
	v_mul_f32_e32 v131, v22, v131                              // 000000009E6C: 0B070716
	v_cvt_pk_fp8_f32 v128, v128, v129                          // 000000009E70: D2A20080 00030380
	v_cvt_pk_fp8_f32 v128, v130, v131 op_sel:[0,0,1]           // 000000009E78: D2A24080 00030782
	v_mul_f32_e32 v132, v23, v132                              // 000000009E80: 0B090917
	v_mul_f32_e32 v133, v23, v133                              // 000000009E84: 0B0B0B17
	v_mul_f32_e32 v134, v23, v134                              // 000000009E88: 0B0D0D17
	v_mul_f32_e32 v135, v23, v135                              // 000000009E8C: 0B0F0F17
	v_cvt_pk_fp8_f32 v129, v132, v133                          // 000000009E90: D2A20081 00030B84
	v_cvt_pk_fp8_f32 v129, v134, v135 op_sel:[0,0,1]           // 000000009E98: D2A24081 00030F86
	v_mul_f32_e32 v136, v22, v136                              // 000000009EA0: 0B111116
	v_mul_f32_e32 v137, v22, v137                              // 000000009EA4: 0B131316
	v_mul_f32_e32 v138, v22, v138                              // 000000009EA8: 0B151516
	v_mul_f32_e32 v139, v22, v139                              // 000000009EAC: 0B171716
	v_cvt_pk_fp8_f32 v130, v136, v137                          // 000000009EB0: D2A20082 00031388
	v_cvt_pk_fp8_f32 v130, v138, v139 op_sel:[0,0,1]           // 000000009EB8: D2A24082 0003178A
	v_mul_f32_e32 v140, v23, v140                              // 000000009EC0: 0B191917
	v_mul_f32_e32 v141, v23, v141                              // 000000009EC4: 0B1B1B17
	v_mul_f32_e32 v142, v23, v142                              // 000000009EC8: 0B1D1D17
	v_mul_f32_e32 v143, v23, v143                              // 000000009ECC: 0B1F1F17
	v_cvt_pk_fp8_f32 v131, v140, v141                          // 000000009ED0: D2A20083 00031B8C
	v_cvt_pk_fp8_f32 v131, v142, v143 op_sel:[0,0,1]           // 000000009ED8: D2A24083 00031F8E
	v_mul_f32_e32 v144, v22, v144                              // 000000009EE0: 0B212116
	v_mul_f32_e32 v145, v22, v145                              // 000000009EE4: 0B232316
	v_mul_f32_e32 v146, v22, v146                              // 000000009EE8: 0B252516
	v_mul_f32_e32 v147, v22, v147                              // 000000009EEC: 0B272716
	v_cvt_pk_fp8_f32 v132, v144, v145                          // 000000009EF0: D2A20084 00032390
	v_cvt_pk_fp8_f32 v132, v146, v147 op_sel:[0,0,1]           // 000000009EF8: D2A24084 00032792
	v_mul_f32_e32 v148, v23, v148                              // 000000009F00: 0B292917
	v_mul_f32_e32 v149, v23, v149                              // 000000009F04: 0B2B2B17
	v_mul_f32_e32 v150, v23, v150                              // 000000009F08: 0B2D2D17
	v_mul_f32_e32 v151, v23, v151                              // 000000009F0C: 0B2F2F17
	v_cvt_pk_fp8_f32 v133, v148, v149                          // 000000009F10: D2A20085 00032B94
	v_cvt_pk_fp8_f32 v133, v150, v151 op_sel:[0,0,1]           // 000000009F18: D2A24085 00032F96
	v_mul_f32_e32 v152, v22, v152                              // 000000009F20: 0B313116
	v_mul_f32_e32 v153, v22, v153                              // 000000009F24: 0B333316
	v_mul_f32_e32 v154, v22, v154                              // 000000009F28: 0B353516
	v_mul_f32_e32 v155, v22, v155                              // 000000009F2C: 0B373716
	v_cvt_pk_fp8_f32 v134, v152, v153                          // 000000009F30: D2A20086 00033398
	v_cvt_pk_fp8_f32 v134, v154, v155 op_sel:[0,0,1]           // 000000009F38: D2A24086 0003379A
	v_mul_f32_e32 v156, v23, v156                              // 000000009F40: 0B393917
	v_mul_f32_e32 v157, v23, v157                              // 000000009F44: 0B3B3B17
	v_mul_f32_e32 v158, v23, v158                              // 000000009F48: 0B3D3D17
	v_mul_f32_e32 v159, v23, v159                              // 000000009F4C: 0B3F3F17
	v_cvt_pk_fp8_f32 v135, v156, v157                          // 000000009F50: D2A20087 00033B9C
	v_cvt_pk_fp8_f32 v135, v158, v159 op_sel:[0,0,1]           // 000000009F58: D2A24087 00033F9E
	v_mul_f32_e32 v160, v22, v160                              // 000000009F60: 0B414116
	v_mul_f32_e32 v161, v22, v161                              // 000000009F64: 0B434316
	v_mul_f32_e32 v162, v22, v162                              // 000000009F68: 0B454516
	v_mul_f32_e32 v163, v22, v163                              // 000000009F6C: 0B474716
	v_cvt_pk_fp8_f32 v136, v160, v161                          // 000000009F70: D2A20088 000343A0
	v_cvt_pk_fp8_f32 v136, v162, v163 op_sel:[0,0,1]           // 000000009F78: D2A24088 000347A2
	v_mul_f32_e32 v164, v23, v164                              // 000000009F80: 0B494917
	v_mul_f32_e32 v165, v23, v165                              // 000000009F84: 0B4B4B17
	v_mul_f32_e32 v166, v23, v166                              // 000000009F88: 0B4D4D17
	v_mul_f32_e32 v167, v23, v167                              // 000000009F8C: 0B4F4F17
	v_cvt_pk_fp8_f32 v137, v164, v165                          // 000000009F90: D2A20089 00034BA4
	v_cvt_pk_fp8_f32 v137, v166, v167 op_sel:[0,0,1]           // 000000009F98: D2A24089 00034FA6
	v_mul_f32_e32 v168, v22, v168                              // 000000009FA0: 0B515116
	v_mul_f32_e32 v169, v22, v169                              // 000000009FA4: 0B535316
	v_mul_f32_e32 v170, v22, v170                              // 000000009FA8: 0B555516
	v_mul_f32_e32 v171, v22, v171                              // 000000009FAC: 0B575716
	v_cvt_pk_fp8_f32 v138, v168, v169                          // 000000009FB0: D2A2008A 000353A8
	v_cvt_pk_fp8_f32 v138, v170, v171 op_sel:[0,0,1]           // 000000009FB8: D2A2408A 000357AA
	v_mul_f32_e32 v172, v23, v172                              // 000000009FC0: 0B595917
	v_mul_f32_e32 v173, v23, v173                              // 000000009FC4: 0B5B5B17
	v_mul_f32_e32 v174, v23, v174                              // 000000009FC8: 0B5D5D17
	v_mul_f32_e32 v175, v23, v175                              // 000000009FCC: 0B5F5F17
	v_cvt_pk_fp8_f32 v139, v172, v173                          // 000000009FD0: D2A2008B 00035BAC
	v_cvt_pk_fp8_f32 v139, v174, v175 op_sel:[0,0,1]           // 000000009FD8: D2A2408B 00035FAE
	v_mul_f32_e32 v176, v22, v176                              // 000000009FE0: 0B616116
	v_mul_f32_e32 v177, v22, v177                              // 000000009FE4: 0B636316
	v_mul_f32_e32 v178, v22, v178                              // 000000009FE8: 0B656516
	v_mul_f32_e32 v179, v22, v179                              // 000000009FEC: 0B676716
	v_cvt_pk_fp8_f32 v140, v176, v177                          // 000000009FF0: D2A2008C 000363B0
	v_cvt_pk_fp8_f32 v140, v178, v179 op_sel:[0,0,1]           // 000000009FF8: D2A2408C 000367B2
	v_mul_f32_e32 v180, v23, v180                              // 00000000A000: 0B696917
	v_mul_f32_e32 v181, v23, v181                              // 00000000A004: 0B6B6B17
	v_mul_f32_e32 v182, v23, v182                              // 00000000A008: 0B6D6D17
	v_mul_f32_e32 v183, v23, v183                              // 00000000A00C: 0B6F6F17
	v_cvt_pk_fp8_f32 v141, v180, v181                          // 00000000A010: D2A2008D 00036BB4
	v_cvt_pk_fp8_f32 v141, v182, v183 op_sel:[0,0,1]           // 00000000A018: D2A2408D 00036FB6
	v_rcp_f32_e32 v24, v22                                     // 00000000A020: 7E304516
	v_rcp_f32_e32 v25, v23                                     // 00000000A024: 7E324517
	v_lshrrev_b32_e32 v52, 5, v0                               // 00000000A028: 20680085
	v_lshlrev_b32_e32 v53, 5, v52                              // 00000000A02C: 246A6885
	v_and_b32_e32 v52, 31, v0                                  // 00000000A030: 2668009F
	v_lshrrev_b32_e32 v54, 4, v52                              // 00000000A034: 206C6884
	v_add_u32_e32 v53, v54, v53                                // 00000000A038: 686A6B36
	v_and_b32_e32 v52, 15, v0                                  // 00000000A03C: 2668008F
	v_lshlrev_b32_e32 v52, 1, v52                              // 00000000A040: 24686881
	v_add_u32_e32 v53, v52, v53                                // 00000000A044: 686A6B34
	v_lshlrev_b32_e32 v52, 2, v53                              // 00000000A048: 24686A82
	s_mul_i32 s60, 0x100, s7                                   // 00000000A04C: 923C07FF 00000100
	v_add_u32_e64 v52, v52, s60                                // 00000000A054: D1340034 00007934
	ds_write_b32 v52, v128 offset:18688                        // 00000000A05C: D81A4900 00008034
	ds_write_b32 v52, v129 offset:25856                        // 00000000A064: D81A6500 00008134
	ds_write_b32 v52, v130 offset:19712                        // 00000000A06C: D81A4D00 00008234
	ds_write_b32 v52, v131 offset:26880                        // 00000000A074: D81A6900 00008334
	ds_write_b32 v52, v132 offset:20736                        // 00000000A07C: D81A5100 00008434
	ds_write_b32 v52, v133 offset:27904                        // 00000000A084: D81A6D00 00008534
	ds_write_b32 v52, v134 offset:21760                        // 00000000A08C: D81A5500 00008634
	ds_write_b32 v52, v135 offset:28928                        // 00000000A094: D81A7100 00008734
	ds_write_b32 v52, v136 offset:22784                        // 00000000A09C: D81A5900 00008834
	ds_write_b32 v52, v137 offset:29952                        // 00000000A0A4: D81A7500 00008934
	ds_write_b32 v52, v138 offset:23808                        // 00000000A0AC: D81A5D00 00008A34
	ds_write_b32 v52, v139 offset:30976                        // 00000000A0B4: D81A7900 00008B34
	ds_write_b32 v52, v140 offset:24832                        // 00000000A0BC: D81A6100 00008C34
	ds_write_b32 v52, v141 offset:32000                        // 00000000A0C4: D81A7D00 00008D34
	s_waitcnt lgkmcnt(0)                                       // 00000000A0CC: BF8CC07F
	s_barrier                                                  // 00000000A0D0: BF8A0000
	v_lshrrev_b32_e32 v52, 4, v0                               // 00000000A0D4: 20680084
	v_lshlrev_b32_e32 v53, 6, v52                              // 00000000A0D8: 246A6886
	v_and_b32_e32 v52, 15, v0                                  // 00000000A0DC: 2668008F
	v_lshlrev_b32_e32 v52, 1, v52                              // 00000000A0E0: 24686881
	v_add_u32_e32 v53, v52, v53                                // 00000000A0E4: 686A6B34
	v_lshlrev_b32_e32 v52, 2, v53                              // 00000000A0E8: 24686A82
	ds_read_b64 v[128:129], v52 offset:18688                   // 00000000A0EC: D8EC4900 80000034
	ds_read_b64 v[130:131], v52 offset:18816                   // 00000000A0F4: D8EC4980 82000034
	ds_read_b64 v[132:133], v52 offset:19712                   // 00000000A0FC: D8EC4D00 84000034
	ds_read_b64 v[134:135], v52 offset:19840                   // 00000000A104: D8EC4D80 86000034
	ds_read_b64 v[136:137], v52 offset:20736                   // 00000000A10C: D8EC5100 88000034
	ds_read_b64 v[138:139], v52 offset:20864                   // 00000000A114: D8EC5180 8A000034
	ds_read_b64 v[140:141], v52 offset:21760                   // 00000000A11C: D8EC5500 8C000034
	ds_read_b64 v[142:143], v52 offset:21888                   // 00000000A124: D8EC5580 8E000034
	ds_read_b64 v[144:145], v52 offset:22784                   // 00000000A12C: D8EC5900 90000034
	ds_read_b64 v[146:147], v52 offset:22912                   // 00000000A134: D8EC5980 92000034
	ds_read_b64 v[148:149], v52 offset:23808                   // 00000000A13C: D8EC5D00 94000034
	ds_read_b64 v[150:151], v52 offset:23936                   // 00000000A144: D8EC5D80 96000034
	ds_read_b64 v[152:153], v52 offset:24832                   // 00000000A14C: D8EC6100 98000034
	ds_read_b64 v[154:155], v52 offset:24960                   // 00000000A154: D8EC6180 9A000034
	ds_read_b64 v[156:157], v52 offset:25856                   // 00000000A15C: D8EC6500 9C000034
	ds_read_b64 v[158:159], v52 offset:25984                   // 00000000A164: D8EC6580 9E000034
	ds_read_b64 v[160:161], v52 offset:26880                   // 00000000A16C: D8EC6900 A0000034
	ds_read_b64 v[162:163], v52 offset:27008                   // 00000000A174: D8EC6980 A2000034
	ds_read_b64 v[164:165], v52 offset:27904                   // 00000000A17C: D8EC6D00 A4000034
	ds_read_b64 v[166:167], v52 offset:28032                   // 00000000A184: D8EC6D80 A6000034
	ds_read_b64 v[168:169], v52 offset:28928                   // 00000000A18C: D8EC7100 A8000034
	ds_read_b64 v[170:171], v52 offset:29056                   // 00000000A194: D8EC7180 AA000034
	ds_read_b64 v[172:173], v52 offset:29952                   // 00000000A19C: D8EC7500 AC000034
	ds_read_b64 v[174:175], v52 offset:30080                   // 00000000A1A4: D8EC7580 AE000034
	ds_read_b64 v[176:177], v52 offset:30976                   // 00000000A1AC: D8EC7900 B0000034
	ds_read_b64 v[178:179], v52 offset:31104                   // 00000000A1B4: D8EC7980 B2000034
	ds_read_b64 v[180:181], v52 offset:32000                   // 00000000A1BC: D8EC7D00 B4000034
	ds_read_b64 v[182:183], v52 offset:32128                   // 00000000A1C4: D8EC7D80 B6000034
	s_add_u32 s12, s56, s12                                    // 00000000A1CC: 800C0C38
	s_addc_u32 s13, 0, s13                                     // 00000000A1D0: 820D0D80
	s_add_u32 s16, s79, s16                                    // 00000000A1D4: 8010104F
	s_addc_u32 s17, 0, s17                                     // 00000000A1D8: 82111180
	s_mov_b32 s80, 0                                           // 00000000A1DC: BED00080
	s_waitcnt vmcnt(0) expcnt(0) lgkmcnt(0)                    // 00000000A1E0: BF8C0000

000000000000a1e4 <label_1DB9>:
	s_waitcnt vmcnt(41)                                        // 00000000A1E4: BF8C8F79
	s_barrier                                                  // 00000000A1E8: BF8A0000
	v_mfma_f32_16x16x32_fp8_fp8 v[184:187], a[0:1], v[128:129], 0// 00000000A1EC: D3F300B8 0A030100
	buffer_load_dwordx4 a[112:115], v41, s[12:15], 0 offen     // 00000000A1F4: E05C1000 80837029
	v_mfma_f32_16x16x32_fp8_fp8 v[184:187], a[2:3], v[130:131], v[184:187]// 00000000A1FC: D3F300B8 0EE30502
	v_mfma_f32_16x16x32_fp8_fp8 v[188:191], a[0:1], v[156:157], 0// 00000000A204: D3F300BC 0A033900
	v_mfma_f32_16x16x32_fp8_fp8 v[188:191], a[2:3], v[158:159], v[188:191]// 00000000A20C: D3F300BC 0EF33D02
	v_mfma_f32_16x16x32_fp8_fp8 v[192:195], a[4:5], v[128:129], 0// 00000000A214: D3F300C0 0A030104
	buffer_load_dwordx4 a[116:119], v42, s[12:15], 0 offen     // 00000000A21C: E05C1000 8083742A
	v_mfma_f32_16x16x32_fp8_fp8 v[192:195], a[6:7], v[130:131], v[192:195]// 00000000A224: D3F300C0 0F030506
	v_mfma_f32_16x16x32_fp8_fp8 v[196:199], a[4:5], v[156:157], 0// 00000000A22C: D3F300C4 0A033904
	v_mfma_f32_16x16x32_fp8_fp8 v[196:199], a[6:7], v[158:159], v[196:199]// 00000000A234: D3F300C4 0F133D06
	v_mfma_f32_16x16x32_fp8_fp8 v[200:203], a[8:9], v[128:129], 0// 00000000A23C: D3F300C8 0A030108
	buffer_load_dwordx4 a[120:123], v43, s[12:15], 0 offen     // 00000000A244: E05C1000 8083782B
	v_mfma_f32_16x16x32_fp8_fp8 v[200:203], a[10:11], v[130:131], v[200:203]// 00000000A24C: D3F300C8 0F23050A
	v_mfma_f32_16x16x32_fp8_fp8 v[204:207], a[8:9], v[156:157], 0// 00000000A254: D3F300CC 0A033908
	v_mfma_f32_16x16x32_fp8_fp8 v[204:207], a[10:11], v[158:159], v[204:207]// 00000000A25C: D3F300CC 0F333D0A
	v_mfma_f32_16x16x32_fp8_fp8 v[208:211], a[12:13], v[128:129], 0// 00000000A264: D3F300D0 0A03010C
	buffer_load_dwordx4 a[124:127], v44, s[12:15], 0 offen     // 00000000A26C: E05C1000 80837C2C
	s_add_u32 s12, s78, s12                                    // 00000000A274: 800C0C4E
	s_addc_u32 s13, 0, s13                                     // 00000000A278: 820D0D80
	v_mfma_f32_16x16x32_fp8_fp8 v[208:211], a[14:15], v[130:131], v[208:211]// 00000000A27C: D3F300D0 0F43050E
	v_mfma_f32_16x16x32_fp8_fp8 v[212:215], a[12:13], v[156:157], 0// 00000000A284: D3F300D4 0A03390C
	v_mfma_f32_16x16x32_fp8_fp8 v[212:215], a[14:15], v[158:159], v[212:215]// 00000000A28C: D3F300D4 0F533D0E
	s_waitcnt vmcnt(41)                                        // 00000000A294: BF8C8F79
	v_mfma_f32_16x16x32_fp8_fp8 v[184:187], a[16:17], v[132:133], v[184:187]// 00000000A298: D3F300B8 0EE30910
	buffer_load_dwordx4 a[128:131], v41, s[12:15], 0 offen     // 00000000A2A0: E05C1000 80838029
	v_mfma_f32_16x16x32_fp8_fp8 v[184:187], a[18:19], v[134:135], v[184:187]// 00000000A2A8: D3F300B8 0EE30D12
	v_mfma_f32_16x16x32_fp8_fp8 v[188:191], a[16:17], v[160:161], v[188:191]// 00000000A2B0: D3F300BC 0EF34110
	v_mfma_f32_16x16x32_fp8_fp8 v[188:191], a[18:19], v[162:163], v[188:191]// 00000000A2B8: D3F300BC 0EF34512
	v_mfma_f32_16x16x32_fp8_fp8 v[192:195], a[20:21], v[132:133], v[192:195]// 00000000A2C0: D3F300C0 0F030914
	buffer_load_dwordx4 a[132:135], v42, s[12:15], 0 offen     // 00000000A2C8: E05C1000 8083842A
	v_mfma_f32_16x16x32_fp8_fp8 v[192:195], a[22:23], v[134:135], v[192:195]// 00000000A2D0: D3F300C0 0F030D16
	v_mfma_f32_16x16x32_fp8_fp8 v[196:199], a[20:21], v[160:161], v[196:199]// 00000000A2D8: D3F300C4 0F134114
	v_mfma_f32_16x16x32_fp8_fp8 v[196:199], a[22:23], v[162:163], v[196:199]// 00000000A2E0: D3F300C4 0F134516
	v_mfma_f32_16x16x32_fp8_fp8 v[200:203], a[24:25], v[132:133], v[200:203]// 00000000A2E8: D3F300C8 0F230918
	buffer_load_dwordx4 a[136:139], v43, s[12:15], 0 offen     // 00000000A2F0: E05C1000 8083882B
	v_mfma_f32_16x16x32_fp8_fp8 v[200:203], a[26:27], v[134:135], v[200:203]// 00000000A2F8: D3F300C8 0F230D1A
	v_mfma_f32_16x16x32_fp8_fp8 v[204:207], a[24:25], v[160:161], v[204:207]// 00000000A300: D3F300CC 0F334118
	v_mfma_f32_16x16x32_fp8_fp8 v[204:207], a[26:27], v[162:163], v[204:207]// 00000000A308: D3F300CC 0F33451A
	v_mfma_f32_16x16x32_fp8_fp8 v[208:211], a[28:29], v[132:133], v[208:211]// 00000000A310: D3F300D0 0F43091C
	buffer_load_dwordx4 a[140:143], v44, s[12:15], 0 offen     // 00000000A318: E05C1000 80838C2C
	s_add_u32 s12, s78, s12                                    // 00000000A320: 800C0C4E
	s_addc_u32 s13, 0, s13                                     // 00000000A324: 820D0D80
	v_mfma_f32_16x16x32_fp8_fp8 v[208:211], a[30:31], v[134:135], v[208:211]// 00000000A328: D3F300D0 0F430D1E
	v_mfma_f32_16x16x32_fp8_fp8 v[212:215], a[28:29], v[160:161], v[212:215]// 00000000A330: D3F300D4 0F53411C
	v_mfma_f32_16x16x32_fp8_fp8 v[212:215], a[30:31], v[162:163], v[212:215]// 00000000A338: D3F300D4 0F53451E
	s_waitcnt vmcnt(41)                                        // 00000000A340: BF8C8F79
	v_mfma_f32_16x16x32_fp8_fp8 v[184:187], a[32:33], v[136:137], v[184:187]// 00000000A344: D3F300B8 0EE31120
	buffer_load_dwordx4 a[144:147], v41, s[12:15], 0 offen     // 00000000A34C: E05C1000 80839029
	v_mfma_f32_16x16x32_fp8_fp8 v[184:187], a[34:35], v[138:139], v[184:187]// 00000000A354: D3F300B8 0EE31522
	v_mfma_f32_16x16x32_fp8_fp8 v[188:191], a[32:33], v[164:165], v[188:191]// 00000000A35C: D3F300BC 0EF34920
	v_mfma_f32_16x16x32_fp8_fp8 v[188:191], a[34:35], v[166:167], v[188:191]// 00000000A364: D3F300BC 0EF34D22
	v_mfma_f32_16x16x32_fp8_fp8 v[192:195], a[36:37], v[136:137], v[192:195]// 00000000A36C: D3F300C0 0F031124
	buffer_load_dwordx4 a[148:151], v42, s[12:15], 0 offen     // 00000000A374: E05C1000 8083942A
	v_mfma_f32_16x16x32_fp8_fp8 v[192:195], a[38:39], v[138:139], v[192:195]// 00000000A37C: D3F300C0 0F031526
	v_mfma_f32_16x16x32_fp8_fp8 v[196:199], a[36:37], v[164:165], v[196:199]// 00000000A384: D3F300C4 0F134924
	v_mfma_f32_16x16x32_fp8_fp8 v[196:199], a[38:39], v[166:167], v[196:199]// 00000000A38C: D3F300C4 0F134D26
	v_mfma_f32_16x16x32_fp8_fp8 v[200:203], a[40:41], v[136:137], v[200:203]// 00000000A394: D3F300C8 0F231128
	buffer_load_dwordx4 a[152:155], v43, s[12:15], 0 offen     // 00000000A39C: E05C1000 8083982B
	v_mfma_f32_16x16x32_fp8_fp8 v[200:203], a[42:43], v[138:139], v[200:203]// 00000000A3A4: D3F300C8 0F23152A
	v_mfma_f32_16x16x32_fp8_fp8 v[204:207], a[40:41], v[164:165], v[204:207]// 00000000A3AC: D3F300CC 0F334928
	v_mfma_f32_16x16x32_fp8_fp8 v[204:207], a[42:43], v[166:167], v[204:207]// 00000000A3B4: D3F300CC 0F334D2A
	v_mfma_f32_16x16x32_fp8_fp8 v[208:211], a[44:45], v[136:137], v[208:211]// 00000000A3BC: D3F300D0 0F43112C
	buffer_load_dwordx4 a[156:159], v44, s[12:15], 0 offen     // 00000000A3C4: E05C1000 80839C2C
	s_add_u32 s12, s78, s12                                    // 00000000A3CC: 800C0C4E
	s_addc_u32 s13, 0, s13                                     // 00000000A3D0: 820D0D80
	v_mfma_f32_16x16x32_fp8_fp8 v[208:211], a[46:47], v[138:139], v[208:211]// 00000000A3D4: D3F300D0 0F43152E
	v_mfma_f32_16x16x32_fp8_fp8 v[212:215], a[44:45], v[164:165], v[212:215]// 00000000A3DC: D3F300D4 0F53492C
	v_mfma_f32_16x16x32_fp8_fp8 v[212:215], a[46:47], v[166:167], v[212:215]// 00000000A3E4: D3F300D4 0F534D2E
	s_waitcnt vmcnt(41)                                        // 00000000A3EC: BF8C8F79
	v_mfma_f32_16x16x32_fp8_fp8 v[184:187], a[48:49], v[140:141], v[184:187]// 00000000A3F0: D3F300B8 0EE31930
	buffer_load_dwordx4 a[160:163], v41, s[12:15], 0 offen     // 00000000A3F8: E05C1000 8083A029
	v_mfma_f32_16x16x32_fp8_fp8 v[184:187], a[50:51], v[142:143], v[184:187]// 00000000A400: D3F300B8 0EE31D32
	v_mfma_f32_16x16x32_fp8_fp8 v[188:191], a[48:49], v[168:169], v[188:191]// 00000000A408: D3F300BC 0EF35130
	v_mfma_f32_16x16x32_fp8_fp8 v[188:191], a[50:51], v[170:171], v[188:191]// 00000000A410: D3F300BC 0EF35532
	v_mfma_f32_16x16x32_fp8_fp8 v[192:195], a[52:53], v[140:141], v[192:195]// 00000000A418: D3F300C0 0F031934
	buffer_load_dwordx4 a[164:167], v42, s[12:15], 0 offen     // 00000000A420: E05C1000 8083A42A
	v_mfma_f32_16x16x32_fp8_fp8 v[192:195], a[54:55], v[142:143], v[192:195]// 00000000A428: D3F300C0 0F031D36
	v_mfma_f32_16x16x32_fp8_fp8 v[196:199], a[52:53], v[168:169], v[196:199]// 00000000A430: D3F300C4 0F135134
	v_mfma_f32_16x16x32_fp8_fp8 v[196:199], a[54:55], v[170:171], v[196:199]// 00000000A438: D3F300C4 0F135536
	v_mfma_f32_16x16x32_fp8_fp8 v[200:203], a[56:57], v[140:141], v[200:203]// 00000000A440: D3F300C8 0F231938
	buffer_load_dwordx4 a[168:171], v43, s[12:15], 0 offen     // 00000000A448: E05C1000 8083A82B
	v_mfma_f32_16x16x32_fp8_fp8 v[200:203], a[58:59], v[142:143], v[200:203]// 00000000A450: D3F300C8 0F231D3A
	v_mfma_f32_16x16x32_fp8_fp8 v[204:207], a[56:57], v[168:169], v[204:207]// 00000000A458: D3F300CC 0F335138
	v_mfma_f32_16x16x32_fp8_fp8 v[204:207], a[58:59], v[170:171], v[204:207]// 00000000A460: D3F300CC 0F33553A
	v_mfma_f32_16x16x32_fp8_fp8 v[208:211], a[60:61], v[140:141], v[208:211]// 00000000A468: D3F300D0 0F43193C
	buffer_load_dwordx4 a[172:175], v44, s[12:15], 0 offen     // 00000000A470: E05C1000 8083AC2C
	s_add_u32 s12, s78, s12                                    // 00000000A478: 800C0C4E
	s_addc_u32 s13, 0, s13                                     // 00000000A47C: 820D0D80
	v_mfma_f32_16x16x32_fp8_fp8 v[208:211], a[62:63], v[142:143], v[208:211]// 00000000A480: D3F300D0 0F431D3E
	v_mfma_f32_16x16x32_fp8_fp8 v[212:215], a[60:61], v[168:169], v[212:215]// 00000000A488: D3F300D4 0F53513C
	v_mfma_f32_16x16x32_fp8_fp8 v[212:215], a[62:63], v[170:171], v[212:215]// 00000000A490: D3F300D4 0F53553E
	s_waitcnt vmcnt(41)                                        // 00000000A498: BF8C8F79
	v_mfma_f32_16x16x32_fp8_fp8 v[184:187], a[64:65], v[144:145], v[184:187]// 00000000A49C: D3F300B8 0EE32140
	buffer_load_dwordx4 a[176:179], v41, s[12:15], 0 offen     // 00000000A4A4: E05C1000 8083B029
	v_mfma_f32_16x16x32_fp8_fp8 v[184:187], a[66:67], v[146:147], v[184:187]// 00000000A4AC: D3F300B8 0EE32542
	v_mfma_f32_16x16x32_fp8_fp8 v[188:191], a[64:65], v[172:173], v[188:191]// 00000000A4B4: D3F300BC 0EF35940
	v_mfma_f32_16x16x32_fp8_fp8 v[188:191], a[66:67], v[174:175], v[188:191]// 00000000A4BC: D3F300BC 0EF35D42
	v_mfma_f32_16x16x32_fp8_fp8 v[192:195], a[68:69], v[144:145], v[192:195]// 00000000A4C4: D3F300C0 0F032144
	buffer_load_dwordx4 a[180:183], v42, s[12:15], 0 offen     // 00000000A4CC: E05C1000 8083B42A
	v_mfma_f32_16x16x32_fp8_fp8 v[192:195], a[70:71], v[146:147], v[192:195]// 00000000A4D4: D3F300C0 0F032546
	v_mfma_f32_16x16x32_fp8_fp8 v[196:199], a[68:69], v[172:173], v[196:199]// 00000000A4DC: D3F300C4 0F135944
	v_mfma_f32_16x16x32_fp8_fp8 v[196:199], a[70:71], v[174:175], v[196:199]// 00000000A4E4: D3F300C4 0F135D46
	v_mfma_f32_16x16x32_fp8_fp8 v[200:203], a[72:73], v[144:145], v[200:203]// 00000000A4EC: D3F300C8 0F232148
	buffer_load_dwordx4 a[184:187], v43, s[12:15], 0 offen     // 00000000A4F4: E05C1000 8083B82B
	v_mfma_f32_16x16x32_fp8_fp8 v[200:203], a[74:75], v[146:147], v[200:203]// 00000000A4FC: D3F300C8 0F23254A
	v_mfma_f32_16x16x32_fp8_fp8 v[204:207], a[72:73], v[172:173], v[204:207]// 00000000A504: D3F300CC 0F335948
	v_mfma_f32_16x16x32_fp8_fp8 v[204:207], a[74:75], v[174:175], v[204:207]// 00000000A50C: D3F300CC 0F335D4A
	v_mfma_f32_16x16x32_fp8_fp8 v[208:211], a[76:77], v[144:145], v[208:211]// 00000000A514: D3F300D0 0F43214C
	buffer_load_dwordx4 a[188:191], v44, s[12:15], 0 offen     // 00000000A51C: E05C1000 8083BC2C
	s_add_u32 s12, s78, s12                                    // 00000000A524: 800C0C4E
	s_addc_u32 s13, 0, s13                                     // 00000000A528: 820D0D80
	v_mfma_f32_16x16x32_fp8_fp8 v[208:211], a[78:79], v[146:147], v[208:211]// 00000000A52C: D3F300D0 0F43254E
	v_mfma_f32_16x16x32_fp8_fp8 v[212:215], a[76:77], v[172:173], v[212:215]// 00000000A534: D3F300D4 0F53594C
	v_mfma_f32_16x16x32_fp8_fp8 v[212:215], a[78:79], v[174:175], v[212:215]// 00000000A53C: D3F300D4 0F535D4E
	s_waitcnt vmcnt(41)                                        // 00000000A544: BF8C8F79
	v_mfma_f32_16x16x32_fp8_fp8 v[184:187], a[80:81], v[148:149], v[184:187]// 00000000A548: D3F300B8 0EE32950
	buffer_load_dwordx4 a[192:195], v41, s[12:15], 0 offen     // 00000000A550: E05C1000 8083C029
	v_mfma_f32_16x16x32_fp8_fp8 v[184:187], a[82:83], v[150:151], v[184:187]// 00000000A558: D3F300B8 0EE32D52
	v_mfma_f32_16x16x32_fp8_fp8 v[188:191], a[80:81], v[176:177], v[188:191]// 00000000A560: D3F300BC 0EF36150
	v_mfma_f32_16x16x32_fp8_fp8 v[188:191], a[82:83], v[178:179], v[188:191]// 00000000A568: D3F300BC 0EF36552
	v_mfma_f32_16x16x32_fp8_fp8 v[192:195], a[84:85], v[148:149], v[192:195]// 00000000A570: D3F300C0 0F032954
	buffer_load_dwordx4 a[196:199], v42, s[12:15], 0 offen     // 00000000A578: E05C1000 8083C42A
	v_mfma_f32_16x16x32_fp8_fp8 v[192:195], a[86:87], v[150:151], v[192:195]// 00000000A580: D3F300C0 0F032D56
	v_mfma_f32_16x16x32_fp8_fp8 v[196:199], a[84:85], v[176:177], v[196:199]// 00000000A588: D3F300C4 0F136154
	v_mfma_f32_16x16x32_fp8_fp8 v[196:199], a[86:87], v[178:179], v[196:199]// 00000000A590: D3F300C4 0F136556
	v_mfma_f32_16x16x32_fp8_fp8 v[200:203], a[88:89], v[148:149], v[200:203]// 00000000A598: D3F300C8 0F232958
	buffer_load_dwordx4 a[200:203], v43, s[12:15], 0 offen     // 00000000A5A0: E05C1000 8083C82B
	v_mfma_f32_16x16x32_fp8_fp8 v[200:203], a[90:91], v[150:151], v[200:203]// 00000000A5A8: D3F300C8 0F232D5A
	v_mfma_f32_16x16x32_fp8_fp8 v[204:207], a[88:89], v[176:177], v[204:207]// 00000000A5B0: D3F300CC 0F336158
	v_mfma_f32_16x16x32_fp8_fp8 v[204:207], a[90:91], v[178:179], v[204:207]// 00000000A5B8: D3F300CC 0F33655A
	v_mfma_f32_16x16x32_fp8_fp8 v[208:211], a[92:93], v[148:149], v[208:211]// 00000000A5C0: D3F300D0 0F43295C
	buffer_load_dwordx4 a[204:207], v44, s[12:15], 0 offen     // 00000000A5C8: E05C1000 8083CC2C
	s_add_u32 s12, s78, s12                                    // 00000000A5D0: 800C0C4E
	s_addc_u32 s13, 0, s13                                     // 00000000A5D4: 820D0D80
	v_mfma_f32_16x16x32_fp8_fp8 v[208:211], a[94:95], v[150:151], v[208:211]// 00000000A5D8: D3F300D0 0F432D5E
	v_mfma_f32_16x16x32_fp8_fp8 v[212:215], a[92:93], v[176:177], v[212:215]// 00000000A5E0: D3F300D4 0F53615C
	v_mfma_f32_16x16x32_fp8_fp8 v[212:215], a[94:95], v[178:179], v[212:215]// 00000000A5E8: D3F300D4 0F53655E
	s_waitcnt vmcnt(40)                                        // 00000000A5F0: BF8C8F78
	v_mfma_f32_16x16x32_fp8_fp8 v[184:187], a[96:97], v[152:153], v[184:187]// 00000000A5F4: D3F300B8 0EE33160
	buffer_load_dwordx4 a[208:211], v41, s[12:15], 0 offen     // 00000000A5FC: E05C1000 8083D029
	v_mfma_f32_16x16x32_fp8_fp8 v[184:187], a[98:99], v[154:155], v[184:187]// 00000000A604: D3F300B8 0EE33562
	v_mfma_f32_16x16x32_fp8_fp8 v[188:191], a[96:97], v[180:181], v[188:191]// 00000000A60C: D3F300BC 0EF36960
	buffer_load_dword v13, v5, s[16:19], 0 offen               // 00000000A614: E0501000 80040D05
	v_mfma_f32_16x16x32_fp8_fp8 v[188:191], a[98:99], v[182:183], v[188:191]// 00000000A61C: D3F300BC 0EF36D62
	v_mfma_f32_16x16x32_fp8_fp8 v[192:195], a[100:101], v[152:153], v[192:195]// 00000000A624: D3F300C0 0F033164
	buffer_load_dwordx4 a[212:215], v42, s[12:15], 0 offen     // 00000000A62C: E05C1000 8083D42A
	v_mfma_f32_16x16x32_fp8_fp8 v[192:195], a[102:103], v[154:155], v[192:195]// 00000000A634: D3F300C0 0F033566
	v_mfma_f32_16x16x32_fp8_fp8 v[196:199], a[100:101], v[180:181], v[196:199]// 00000000A63C: D3F300C4 0F136964
	v_mfma_f32_16x16x32_fp8_fp8 v[196:199], a[102:103], v[182:183], v[196:199]// 00000000A644: D3F300C4 0F136D66
	v_mfma_f32_16x16x32_fp8_fp8 v[200:203], a[104:105], v[152:153], v[200:203]// 00000000A64C: D3F300C8 0F233168
	buffer_load_dwordx4 a[216:219], v43, s[12:15], 0 offen     // 00000000A654: E05C1000 8083D82B
	v_mfma_f32_16x16x32_fp8_fp8 v[200:203], a[106:107], v[154:155], v[200:203]// 00000000A65C: D3F300C8 0F23356A
	v_mfma_f32_16x16x32_fp8_fp8 v[204:207], a[104:105], v[180:181], v[204:207]// 00000000A664: D3F300CC 0F336968
	v_mfma_f32_16x16x32_fp8_fp8 v[204:207], a[106:107], v[182:183], v[204:207]// 00000000A66C: D3F300CC 0F336D6A
	v_mfma_f32_16x16x32_fp8_fp8 v[208:211], a[108:109], v[152:153], v[208:211]// 00000000A674: D3F300D0 0F43316C
	buffer_load_dwordx4 a[220:223], v44, s[12:15], 0 offen     // 00000000A67C: E05C1000 8083DC2C
	v_mfma_f32_16x16x32_fp8_fp8 v[208:211], a[110:111], v[154:155], v[208:211]// 00000000A684: D3F300D0 0F43356E
	v_mfma_f32_16x16x32_fp8_fp8 v[212:215], a[108:109], v[180:181], v[212:215]// 00000000A68C: D3F300D4 0F53696C
	v_mfma_f32_16x16x32_fp8_fp8 v[212:215], a[110:111], v[182:183], v[212:215]// 00000000A694: D3F300D4 0F536D6E
	s_add_u32 s60, 0x200, s80                                  // 00000000A69C: 803C50FF 00000200
	s_cmp_lt_u32 s60, s81                                      // 00000000A6A4: BF0A513C
	s_cselect_b32 s56, s56, 0                                  // 00000000A6A8: 85388038
	s_cselect_b32 s78, s78, 0                                  // 00000000A6AC: 854E804E
	s_cselect_b32 s79, s79, 0                                  // 00000000A6B0: 854F804F
	s_add_u32 s12, s56, s12                                    // 00000000A6B4: 800C0C38
	s_addc_u32 s13, 0, s13                                     // 00000000A6B8: 820D0D80
	s_add_u32 s16, s79, s16                                    // 00000000A6BC: 8010104F
	s_addc_u32 s17, 0, s17                                     // 00000000A6C0: 82111180
	v_mul_f32_e32 v184, v24, v184                              // 00000000A6C4: 0B717118
	v_mul_f32_e32 v185, v24, v185                              // 00000000A6C8: 0B737318
	v_mul_f32_e32 v186, v24, v186                              // 00000000A6CC: 0B757518
	v_mul_f32_e32 v187, v24, v187                              // 00000000A6D0: 0B777718
	v_mul_f32_dpp v184, v12, v184 row_newbcast:0 row_mask:0xf bank_mask:0xf// 00000000A6D4: 0B7170FA FF01500C
	v_mul_f32_dpp v185, v12, v185 row_newbcast:1 row_mask:0xf bank_mask:0xf// 00000000A6DC: 0B7372FA FF01510C
	v_mul_f32_dpp v186, v12, v186 row_newbcast:2 row_mask:0xf bank_mask:0xf// 00000000A6E4: 0B7574FA FF01520C
	v_mul_f32_dpp v187, v12, v187 row_newbcast:3 row_mask:0xf bank_mask:0xf// 00000000A6EC: 0B7776FA FF01530C
	v_mul_f32_e32 v184, v20, v184                              // 00000000A6F4: 0B717114
	v_mul_f32_e32 v185, v20, v185                              // 00000000A6F8: 0B737314
	v_mul_f32_e32 v186, v20, v186                              // 00000000A6FC: 0B757514
	v_mul_f32_e32 v187, v20, v187                              // 00000000A700: 0B777714
	v_mul_f32_e32 v188, v25, v188                              // 00000000A704: 0B797919
	v_mul_f32_e32 v189, v25, v189                              // 00000000A708: 0B7B7B19
	v_mul_f32_e32 v190, v25, v190                              // 00000000A70C: 0B7D7D19
	v_mul_f32_e32 v191, v25, v191                              // 00000000A710: 0B7F7F19
	v_mul_f32_dpp v188, v12, v188 row_newbcast:0 row_mask:0xf bank_mask:0xf// 00000000A714: 0B7978FA FF01500C
	v_mul_f32_dpp v189, v12, v189 row_newbcast:1 row_mask:0xf bank_mask:0xf// 00000000A71C: 0B7B7AFA FF01510C
	v_mul_f32_dpp v190, v12, v190 row_newbcast:2 row_mask:0xf bank_mask:0xf// 00000000A724: 0B7D7CFA FF01520C
	v_mul_f32_dpp v191, v12, v191 row_newbcast:3 row_mask:0xf bank_mask:0xf// 00000000A72C: 0B7F7EFA FF01530C
	v_mul_f32_e32 v188, v21, v188                              // 00000000A734: 0B797915
	v_mul_f32_e32 v189, v21, v189                              // 00000000A738: 0B7B7B15
	v_mul_f32_e32 v190, v21, v190                              // 00000000A73C: 0B7D7D15
	v_mul_f32_e32 v191, v21, v191                              // 00000000A740: 0B7F7F15
	v_mul_f32_e32 v192, v24, v192                              // 00000000A744: 0B818118
	v_mul_f32_e32 v193, v24, v193                              // 00000000A748: 0B838318
	v_mul_f32_e32 v194, v24, v194                              // 00000000A74C: 0B858518
	v_mul_f32_e32 v195, v24, v195                              // 00000000A750: 0B878718
	v_mul_f32_dpp v192, v12, v192 row_newbcast:4 row_mask:0xf bank_mask:0xf// 00000000A754: 0B8180FA FF01540C
	v_mul_f32_dpp v193, v12, v193 row_newbcast:5 row_mask:0xf bank_mask:0xf// 00000000A75C: 0B8382FA FF01550C
	v_mul_f32_dpp v194, v12, v194 row_newbcast:6 row_mask:0xf bank_mask:0xf// 00000000A764: 0B8584FA FF01560C
	v_mul_f32_dpp v195, v12, v195 row_newbcast:7 row_mask:0xf bank_mask:0xf// 00000000A76C: 0B8786FA FF01570C
	v_mul_f32_e32 v192, v20, v192                              // 00000000A774: 0B818114
	v_mul_f32_e32 v193, v20, v193                              // 00000000A778: 0B838314
	v_mul_f32_e32 v194, v20, v194                              // 00000000A77C: 0B858514
	v_mul_f32_e32 v195, v20, v195                              // 00000000A780: 0B878714
	v_mul_f32_e32 v196, v25, v196                              // 00000000A784: 0B898919
	v_mul_f32_e32 v197, v25, v197                              // 00000000A788: 0B8B8B19
	v_mul_f32_e32 v198, v25, v198                              // 00000000A78C: 0B8D8D19
	v_mul_f32_e32 v199, v25, v199                              // 00000000A790: 0B8F8F19
	v_mul_f32_dpp v196, v12, v196 row_newbcast:4 row_mask:0xf bank_mask:0xf// 00000000A794: 0B8988FA FF01540C
	v_mul_f32_dpp v197, v12, v197 row_newbcast:5 row_mask:0xf bank_mask:0xf// 00000000A79C: 0B8B8AFA FF01550C
	v_mul_f32_dpp v198, v12, v198 row_newbcast:6 row_mask:0xf bank_mask:0xf// 00000000A7A4: 0B8D8CFA FF01560C
	v_mul_f32_dpp v199, v12, v199 row_newbcast:7 row_mask:0xf bank_mask:0xf// 00000000A7AC: 0B8F8EFA FF01570C
	v_mul_f32_e32 v196, v21, v196                              // 00000000A7B4: 0B898915
	v_mul_f32_e32 v197, v21, v197                              // 00000000A7B8: 0B8B8B15
	v_mul_f32_e32 v198, v21, v198                              // 00000000A7BC: 0B8D8D15
	v_mul_f32_e32 v199, v21, v199                              // 00000000A7C0: 0B8F8F15
	v_mul_f32_e32 v200, v24, v200                              // 00000000A7C4: 0B919118
	v_mul_f32_e32 v201, v24, v201                              // 00000000A7C8: 0B939318
	v_mul_f32_e32 v202, v24, v202                              // 00000000A7CC: 0B959518
	v_mul_f32_e32 v203, v24, v203                              // 00000000A7D0: 0B979718
	v_mul_f32_dpp v200, v12, v200 row_newbcast:8 row_mask:0xf bank_mask:0xf// 00000000A7D4: 0B9190FA FF01580C
	v_mul_f32_dpp v201, v12, v201 row_newbcast:9 row_mask:0xf bank_mask:0xf// 00000000A7DC: 0B9392FA FF01590C
	v_mul_f32_dpp v202, v12, v202 row_newbcast:10 row_mask:0xf bank_mask:0xf// 00000000A7E4: 0B9594FA FF015A0C
	v_mul_f32_dpp v203, v12, v203 row_newbcast:11 row_mask:0xf bank_mask:0xf// 00000000A7EC: 0B9796FA FF015B0C
	v_mul_f32_e32 v200, v20, v200                              // 00000000A7F4: 0B919114
	v_mul_f32_e32 v201, v20, v201                              // 00000000A7F8: 0B939314
	v_mul_f32_e32 v202, v20, v202                              // 00000000A7FC: 0B959514
	v_mul_f32_e32 v203, v20, v203                              // 00000000A800: 0B979714
	v_mul_f32_e32 v204, v25, v204                              // 00000000A804: 0B999919
	v_mul_f32_e32 v205, v25, v205                              // 00000000A808: 0B9B9B19
	v_mul_f32_e32 v206, v25, v206                              // 00000000A80C: 0B9D9D19
	v_mul_f32_e32 v207, v25, v207                              // 00000000A810: 0B9F9F19
	v_mul_f32_dpp v204, v12, v204 row_newbcast:8 row_mask:0xf bank_mask:0xf// 00000000A814: 0B9998FA FF01580C
	v_mul_f32_dpp v205, v12, v205 row_newbcast:9 row_mask:0xf bank_mask:0xf// 00000000A81C: 0B9B9AFA FF01590C
	v_mul_f32_dpp v206, v12, v206 row_newbcast:10 row_mask:0xf bank_mask:0xf// 00000000A824: 0B9D9CFA FF015A0C
	v_mul_f32_dpp v207, v12, v207 row_newbcast:11 row_mask:0xf bank_mask:0xf// 00000000A82C: 0B9F9EFA FF015B0C
	v_mul_f32_e32 v204, v21, v204                              // 00000000A834: 0B999915
	v_mul_f32_e32 v205, v21, v205                              // 00000000A838: 0B9B9B15
	v_mul_f32_e32 v206, v21, v206                              // 00000000A83C: 0B9D9D15
	v_mul_f32_e32 v207, v21, v207                              // 00000000A840: 0B9F9F15
	v_mul_f32_e32 v208, v24, v208                              // 00000000A844: 0BA1A118
	v_mul_f32_e32 v209, v24, v209                              // 00000000A848: 0BA3A318
	v_mul_f32_e32 v210, v24, v210                              // 00000000A84C: 0BA5A518
	v_mul_f32_e32 v211, v24, v211                              // 00000000A850: 0BA7A718
	v_mul_f32_dpp v208, v12, v208 row_newbcast:12 row_mask:0xf bank_mask:0xf// 00000000A854: 0BA1A0FA FF015C0C
	v_mul_f32_dpp v209, v12, v209 row_newbcast:13 row_mask:0xf bank_mask:0xf// 00000000A85C: 0BA3A2FA FF015D0C
	v_mul_f32_dpp v210, v12, v210 row_newbcast:14 row_mask:0xf bank_mask:0xf// 00000000A864: 0BA5A4FA FF015E0C
	v_mul_f32_dpp v211, v12, v211 row_newbcast:15 row_mask:0xf bank_mask:0xf// 00000000A86C: 0BA7A6FA FF015F0C
	v_mul_f32_e32 v208, v20, v208                              // 00000000A874: 0BA1A114
	v_mul_f32_e32 v209, v20, v209                              // 00000000A878: 0BA3A314
	v_mul_f32_e32 v210, v20, v210                              // 00000000A87C: 0BA5A514
	v_mul_f32_e32 v211, v20, v211                              // 00000000A880: 0BA7A714
	v_mul_f32_e32 v212, v25, v212                              // 00000000A884: 0BA9A919
	v_mul_f32_e32 v213, v25, v213                              // 00000000A888: 0BABAB19
	v_mul_f32_e32 v214, v25, v214                              // 00000000A88C: 0BADAD19
	v_mul_f32_e32 v215, v25, v215                              // 00000000A890: 0BAFAF19
	v_mul_f32_dpp v212, v12, v212 row_newbcast:12 row_mask:0xf bank_mask:0xf// 00000000A894: 0BA9A8FA FF015C0C
	v_mul_f32_dpp v213, v12, v213 row_newbcast:13 row_mask:0xf bank_mask:0xf// 00000000A89C: 0BABAAFA FF015D0C
	v_mul_f32_dpp v214, v12, v214 row_newbcast:14 row_mask:0xf bank_mask:0xf// 00000000A8A4: 0BADACFA FF015E0C
	v_mul_f32_dpp v215, v12, v215 row_newbcast:15 row_mask:0xf bank_mask:0xf// 00000000A8AC: 0BAFAEFA FF015F0C
	v_mul_f32_e32 v212, v21, v212                              // 00000000A8B4: 0BA9A915
	v_mul_f32_e32 v213, v21, v213                              // 00000000A8B8: 0BABAB15
	v_mul_f32_e32 v214, v21, v214                              // 00000000A8BC: 0BADAD15
	v_mul_f32_e32 v215, v21, v215                              // 00000000A8C0: 0BAFAF15
	v_cmp_u_f32_e64 s[48:49], v184, v184                       // 00000000A8C4: D0480030 000371B8
	v_add3_u32 v45, v184, v48, 1                               // 00000000A8CC: D1FF002D 020661B8
	v_cndmask_b32_e64 v52, v45, v47, s[48:49]                  // 00000000A8D4: D1000034 00C25F2D
	v_cmp_u_f32_e64 s[48:49], v185, v185                       // 00000000A8DC: D0480030 000373B9
	v_add3_u32 v45, v185, v48, 1                               // 00000000A8E4: D1FF002D 020661B9
	v_cndmask_b32_e64 v53, v45, v47, s[48:49]                  // 00000000A8EC: D1000035 00C25F2D
	v_perm_b32 v184, v53, v52, s52                             // 00000000A8F4: D1ED00B8 00D26935
	v_cmp_u_f32_e64 s[48:49], v186, v186                       // 00000000A8FC: D0480030 000375BA
	v_add3_u32 v45, v186, v48, 1                               // 00000000A904: D1FF002D 020661BA
	v_cndmask_b32_e64 v52, v45, v47, s[48:49]                  // 00000000A90C: D1000034 00C25F2D
	v_cmp_u_f32_e64 s[48:49], v187, v187                       // 00000000A914: D0480030 000377BB
	v_add3_u32 v45, v187, v48, 1                               // 00000000A91C: D1FF002D 020661BB
	v_cndmask_b32_e64 v53, v45, v47, s[48:49]                  // 00000000A924: D1000035 00C25F2D
	v_perm_b32 v185, v53, v52, s52                             // 00000000A92C: D1ED00B9 00D26935
	v_cmp_u_f32_e64 s[48:49], v188, v188                       // 00000000A934: D0480030 000379BC
	v_add3_u32 v45, v188, v48, 1                               // 00000000A93C: D1FF002D 020661BC
	v_cndmask_b32_e64 v52, v45, v47, s[48:49]                  // 00000000A944: D1000034 00C25F2D
	v_cmp_u_f32_e64 s[48:49], v189, v189                       // 00000000A94C: D0480030 00037BBD
	v_add3_u32 v45, v189, v48, 1                               // 00000000A954: D1FF002D 020661BD
	v_cndmask_b32_e64 v53, v45, v47, s[48:49]                  // 00000000A95C: D1000035 00C25F2D
	v_perm_b32 v186, v53, v52, s52                             // 00000000A964: D1ED00BA 00D26935
	v_cmp_u_f32_e64 s[48:49], v190, v190                       // 00000000A96C: D0480030 00037DBE
	v_add3_u32 v45, v190, v48, 1                               // 00000000A974: D1FF002D 020661BE
	v_cndmask_b32_e64 v52, v45, v47, s[48:49]                  // 00000000A97C: D1000034 00C25F2D
	v_cmp_u_f32_e64 s[48:49], v191, v191                       // 00000000A984: D0480030 00037FBF
	v_add3_u32 v45, v191, v48, 1                               // 00000000A98C: D1FF002D 020661BF
	v_cndmask_b32_e64 v53, v45, v47, s[48:49]                  // 00000000A994: D1000035 00C25F2D
	v_perm_b32 v187, v53, v52, s52                             // 00000000A99C: D1ED00BB 00D26935
	v_cmp_u_f32_e64 s[48:49], v192, v192                       // 00000000A9A4: D0480030 000381C0
	v_add3_u32 v45, v192, v48, 1                               // 00000000A9AC: D1FF002D 020661C0
	v_cndmask_b32_e64 v52, v45, v47, s[48:49]                  // 00000000A9B4: D1000034 00C25F2D
	v_cmp_u_f32_e64 s[48:49], v193, v193                       // 00000000A9BC: D0480030 000383C1
	v_add3_u32 v45, v193, v48, 1                               // 00000000A9C4: D1FF002D 020661C1
	v_cndmask_b32_e64 v53, v45, v47, s[48:49]                  // 00000000A9CC: D1000035 00C25F2D
	v_perm_b32 v188, v53, v52, s52                             // 00000000A9D4: D1ED00BC 00D26935
	v_cmp_u_f32_e64 s[48:49], v194, v194                       // 00000000A9DC: D0480030 000385C2
	v_add3_u32 v45, v194, v48, 1                               // 00000000A9E4: D1FF002D 020661C2
	v_cndmask_b32_e64 v52, v45, v47, s[48:49]                  // 00000000A9EC: D1000034 00C25F2D
	v_cmp_u_f32_e64 s[48:49], v195, v195                       // 00000000A9F4: D0480030 000387C3
	v_add3_u32 v45, v195, v48, 1                               // 00000000A9FC: D1FF002D 020661C3
	v_cndmask_b32_e64 v53, v45, v47, s[48:49]                  // 00000000AA04: D1000035 00C25F2D
	v_perm_b32 v189, v53, v52, s52                             // 00000000AA0C: D1ED00BD 00D26935
	v_cmp_u_f32_e64 s[48:49], v196, v196                       // 00000000AA14: D0480030 000389C4
	v_add3_u32 v45, v196, v48, 1                               // 00000000AA1C: D1FF002D 020661C4
	v_cndmask_b32_e64 v52, v45, v47, s[48:49]                  // 00000000AA24: D1000034 00C25F2D
	v_cmp_u_f32_e64 s[48:49], v197, v197                       // 00000000AA2C: D0480030 00038BC5
	v_add3_u32 v45, v197, v48, 1                               // 00000000AA34: D1FF002D 020661C5
	v_cndmask_b32_e64 v53, v45, v47, s[48:49]                  // 00000000AA3C: D1000035 00C25F2D
	v_perm_b32 v190, v53, v52, s52                             // 00000000AA44: D1ED00BE 00D26935
	v_cmp_u_f32_e64 s[48:49], v198, v198                       // 00000000AA4C: D0480030 00038DC6
	v_add3_u32 v45, v198, v48, 1                               // 00000000AA54: D1FF002D 020661C6
	v_cndmask_b32_e64 v52, v45, v47, s[48:49]                  // 00000000AA5C: D1000034 00C25F2D
	v_cmp_u_f32_e64 s[48:49], v199, v199                       // 00000000AA64: D0480030 00038FC7
	v_add3_u32 v45, v199, v48, 1                               // 00000000AA6C: D1FF002D 020661C7
	v_cndmask_b32_e64 v53, v45, v47, s[48:49]                  // 00000000AA74: D1000035 00C25F2D
	v_perm_b32 v191, v53, v52, s52                             // 00000000AA7C: D1ED00BF 00D26935
	v_cmp_u_f32_e64 s[48:49], v200, v200                       // 00000000AA84: D0480030 000391C8
	v_add3_u32 v45, v200, v48, 1                               // 00000000AA8C: D1FF002D 020661C8
	v_cndmask_b32_e64 v52, v45, v47, s[48:49]                  // 00000000AA94: D1000034 00C25F2D
	v_cmp_u_f32_e64 s[48:49], v201, v201                       // 00000000AA9C: D0480030 000393C9
	v_add3_u32 v45, v201, v48, 1                               // 00000000AAA4: D1FF002D 020661C9
	v_cndmask_b32_e64 v53, v45, v47, s[48:49]                  // 00000000AAAC: D1000035 00C25F2D
	v_perm_b32 v192, v53, v52, s52                             // 00000000AAB4: D1ED00C0 00D26935
	v_cmp_u_f32_e64 s[48:49], v202, v202                       // 00000000AABC: D0480030 000395CA
	v_add3_u32 v45, v202, v48, 1                               // 00000000AAC4: D1FF002D 020661CA
	v_cndmask_b32_e64 v52, v45, v47, s[48:49]                  // 00000000AACC: D1000034 00C25F2D
	v_cmp_u_f32_e64 s[48:49], v203, v203                       // 00000000AAD4: D0480030 000397CB
	v_add3_u32 v45, v203, v48, 1                               // 00000000AADC: D1FF002D 020661CB
	v_cndmask_b32_e64 v53, v45, v47, s[48:49]                  // 00000000AAE4: D1000035 00C25F2D
	v_perm_b32 v193, v53, v52, s52                             // 00000000AAEC: D1ED00C1 00D26935
	v_cmp_u_f32_e64 s[48:49], v204, v204                       // 00000000AAF4: D0480030 000399CC
	v_add3_u32 v45, v204, v48, 1                               // 00000000AAFC: D1FF002D 020661CC
	v_cndmask_b32_e64 v52, v45, v47, s[48:49]                  // 00000000AB04: D1000034 00C25F2D
	v_cmp_u_f32_e64 s[48:49], v205, v205                       // 00000000AB0C: D0480030 00039BCD
	v_add3_u32 v45, v205, v48, 1                               // 00000000AB14: D1FF002D 020661CD
	v_cndmask_b32_e64 v53, v45, v47, s[48:49]                  // 00000000AB1C: D1000035 00C25F2D
	v_perm_b32 v194, v53, v52, s52                             // 00000000AB24: D1ED00C2 00D26935
	v_cmp_u_f32_e64 s[48:49], v206, v206                       // 00000000AB2C: D0480030 00039DCE
	v_add3_u32 v45, v206, v48, 1                               // 00000000AB34: D1FF002D 020661CE
	v_cndmask_b32_e64 v52, v45, v47, s[48:49]                  // 00000000AB3C: D1000034 00C25F2D
	v_cmp_u_f32_e64 s[48:49], v207, v207                       // 00000000AB44: D0480030 00039FCF
	v_add3_u32 v45, v207, v48, 1                               // 00000000AB4C: D1FF002D 020661CF
	v_cndmask_b32_e64 v53, v45, v47, s[48:49]                  // 00000000AB54: D1000035 00C25F2D
	v_perm_b32 v195, v53, v52, s52                             // 00000000AB5C: D1ED00C3 00D26935
	v_cmp_u_f32_e64 s[48:49], v208, v208                       // 00000000AB64: D0480030 0003A1D0
	v_add3_u32 v45, v208, v48, 1                               // 00000000AB6C: D1FF002D 020661D0
	v_cndmask_b32_e64 v52, v45, v47, s[48:49]                  // 00000000AB74: D1000034 00C25F2D
	v_cmp_u_f32_e64 s[48:49], v209, v209                       // 00000000AB7C: D0480030 0003A3D1
	v_add3_u32 v45, v209, v48, 1                               // 00000000AB84: D1FF002D 020661D1
	v_cndmask_b32_e64 v53, v45, v47, s[48:49]                  // 00000000AB8C: D1000035 00C25F2D
	v_perm_b32 v196, v53, v52, s52                             // 00000000AB94: D1ED00C4 00D26935
	v_cmp_u_f32_e64 s[48:49], v210, v210                       // 00000000AB9C: D0480030 0003A5D2
	v_add3_u32 v45, v210, v48, 1                               // 00000000ABA4: D1FF002D 020661D2
	v_cndmask_b32_e64 v52, v45, v47, s[48:49]                  // 00000000ABAC: D1000034 00C25F2D
	v_cmp_u_f32_e64 s[48:49], v211, v211                       // 00000000ABB4: D0480030 0003A7D3
	v_add3_u32 v45, v211, v48, 1                               // 00000000ABBC: D1FF002D 020661D3
	v_cndmask_b32_e64 v53, v45, v47, s[48:49]                  // 00000000ABC4: D1000035 00C25F2D
	v_perm_b32 v197, v53, v52, s52                             // 00000000ABCC: D1ED00C5 00D26935
	v_cmp_u_f32_e64 s[48:49], v212, v212                       // 00000000ABD4: D0480030 0003A9D4
	v_add3_u32 v45, v212, v48, 1                               // 00000000ABDC: D1FF002D 020661D4
	v_cndmask_b32_e64 v52, v45, v47, s[48:49]                  // 00000000ABE4: D1000034 00C25F2D
	v_cmp_u_f32_e64 s[48:49], v213, v213                       // 00000000ABEC: D0480030 0003ABD5
	v_add3_u32 v45, v213, v48, 1                               // 00000000ABF4: D1FF002D 020661D5
	v_cndmask_b32_e64 v53, v45, v47, s[48:49]                  // 00000000ABFC: D1000035 00C25F2D
	v_perm_b32 v198, v53, v52, s52                             // 00000000AC04: D1ED00C6 00D26935
	v_cmp_u_f32_e64 s[48:49], v214, v214                       // 00000000AC0C: D0480030 0003ADD6
	v_add3_u32 v45, v214, v48, 1                               // 00000000AC14: D1FF002D 020661D6
	v_cndmask_b32_e64 v52, v45, v47, s[48:49]                  // 00000000AC1C: D1000034 00C25F2D
	v_cmp_u_f32_e64 s[48:49], v215, v215                       // 00000000AC24: D0480030 0003AFD7
	v_add3_u32 v45, v215, v48, 1                               // 00000000AC2C: D1FF002D 020661D7
	v_cndmask_b32_e64 v53, v45, v47, s[48:49]                  // 00000000AC34: D1000035 00C25F2D
	v_perm_b32 v199, v53, v52, s52                             // 00000000AC3C: D1ED00C7 00D26935
	ds_write_b64 v3, v[184:185] offset:33024                   // 00000000AC44: D89A8100 0000B803
	ds_write_b64 v3, v[186:187] offset:41728                   // 00000000AC4C: D89AA300 0000BA03
	ds_write_b64 v3, v[188:189] offset:35200                   // 00000000AC54: D89A8980 0000BC03
	ds_write_b64 v3, v[190:191] offset:43904                   // 00000000AC5C: D89AAB80 0000BE03
	ds_write_b64 v3, v[192:193] offset:37376                   // 00000000AC64: D89A9200 0000C003
	ds_write_b64 v3, v[194:195] offset:46080                   // 00000000AC6C: D89AB400 0000C203
	ds_write_b64 v3, v[196:197] offset:39552                   // 00000000AC74: D89A9A80 0000C403
	ds_write_b64 v3, v[198:199] offset:48256                   // 00000000AC7C: D89ABC80 0000C603
	s_waitcnt lgkmcnt(0)                                       // 00000000AC84: BF8CC07F
	s_barrier                                                  // 00000000AC88: BF8A0000
	ds_read_b32 v64, v4 offset:33024                           // 00000000AC8C: D86C8100 40000004
	ds_read_b32 v65, v4 offset:37376                           // 00000000AC94: D86C9200 41000004
	ds_read_b32 v66, v4 offset:33056                           // 00000000AC9C: D86C8120 42000004
	ds_read_b32 v67, v4 offset:37408                           // 00000000ACA4: D86C9220 43000004
	ds_read_b32 v68, v4 offset:33088                           // 00000000ACAC: D86C8140 44000004
	ds_read_b32 v69, v4 offset:37440                           // 00000000ACB4: D86C9240 45000004
	ds_read_b32 v70, v4 offset:33120                           // 00000000ACBC: D86C8160 46000004
	ds_read_b32 v71, v4 offset:37472                           // 00000000ACC4: D86C9260 47000004
	ds_read_b32 v72, v4 offset:41728                           // 00000000ACCC: D86CA300 48000004
	ds_read_b32 v73, v4 offset:46080                           // 00000000ACD4: D86CB400 49000004
	ds_read_b32 v74, v4 offset:41760                           // 00000000ACDC: D86CA320 4A000004
	ds_read_b32 v75, v4 offset:46112                           // 00000000ACE4: D86CB420 4B000004
	ds_read_b32 v76, v4 offset:41792                           // 00000000ACEC: D86CA340 4C000004
	ds_read_b32 v77, v4 offset:46144                           // 00000000ACF4: D86CB440 4D000004
	ds_read_b32 v78, v4 offset:41824                           // 00000000ACFC: D86CA360 4E000004
	ds_read_b32 v79, v4 offset:46176                           // 00000000AD04: D86CB460 4F000004
	s_waitcnt lgkmcnt(0)                                       // 00000000AD0C: BF8CC07F
	s_mov_b64 exec, s[20:21]                                   // 00000000AD10: BEFE0114
	global_atomic_pk_add_bf16 v80, v64, s[8:9]                 // 00000000AD14: DD488000 00084050
	s_mov_b64 exec, s[36:37]                                   // 00000000AD1C: BEFE0124
	s_mov_b64 exec, s[20:21]                                   // 00000000AD20: BEFE0114
	global_atomic_pk_add_bf16 v80, v65, s[8:9] offset:256      // 00000000AD24: DD488100 00084150
	s_mov_b64 exec, s[36:37]                                   // 00000000AD2C: BEFE0124
	s_mov_b64 exec, s[22:23]                                   // 00000000AD30: BEFE0116
	global_atomic_pk_add_bf16 v82, v66, s[8:9]                 // 00000000AD34: DD488000 00084252
	s_mov_b64 exec, s[36:37]                                   // 00000000AD3C: BEFE0124
	s_mov_b64 exec, s[22:23]                                   // 00000000AD40: BEFE0116
	global_atomic_pk_add_bf16 v82, v67, s[8:9] offset:256      // 00000000AD44: DD488100 00084352
	s_mov_b64 exec, s[36:37]                                   // 00000000AD4C: BEFE0124
	s_mov_b64 exec, s[24:25]                                   // 00000000AD50: BEFE0118
	global_atomic_pk_add_bf16 v84, v68, s[8:9]                 // 00000000AD54: DD488000 00084454
	s_mov_b64 exec, s[36:37]                                   // 00000000AD5C: BEFE0124
	s_mov_b64 exec, s[24:25]                                   // 00000000AD60: BEFE0118
	global_atomic_pk_add_bf16 v84, v69, s[8:9] offset:256      // 00000000AD64: DD488100 00084554
	s_mov_b64 exec, s[36:37]                                   // 00000000AD6C: BEFE0124
	s_mov_b64 exec, s[26:27]                                   // 00000000AD70: BEFE011A
	global_atomic_pk_add_bf16 v86, v70, s[8:9]                 // 00000000AD74: DD488000 00084656
	s_mov_b64 exec, s[36:37]                                   // 00000000AD7C: BEFE0124
	s_mov_b64 exec, s[26:27]                                   // 00000000AD80: BEFE011A
	global_atomic_pk_add_bf16 v86, v71, s[8:9] offset:256      // 00000000AD84: DD488100 00084756
	s_mov_b64 exec, s[36:37]                                   // 00000000AD8C: BEFE0124
	s_mov_b64 exec, s[28:29]                                   // 00000000AD90: BEFE011C
	global_atomic_pk_add_bf16 v88, v72, s[8:9]                 // 00000000AD94: DD488000 00084858
	s_mov_b64 exec, s[36:37]                                   // 00000000AD9C: BEFE0124
	s_mov_b64 exec, s[28:29]                                   // 00000000ADA0: BEFE011C
	global_atomic_pk_add_bf16 v88, v73, s[8:9] offset:256      // 00000000ADA4: DD488100 00084958
	s_mov_b64 exec, s[36:37]                                   // 00000000ADAC: BEFE0124
	s_mov_b64 exec, s[30:31]                                   // 00000000ADB0: BEFE011E
	global_atomic_pk_add_bf16 v90, v74, s[8:9]                 // 00000000ADB4: DD488000 00084A5A
	s_mov_b64 exec, s[36:37]                                   // 00000000ADBC: BEFE0124
	s_mov_b64 exec, s[30:31]                                   // 00000000ADC0: BEFE011E
	global_atomic_pk_add_bf16 v90, v75, s[8:9] offset:256      // 00000000ADC4: DD488100 00084B5A
	s_mov_b64 exec, s[36:37]                                   // 00000000ADCC: BEFE0124
	s_mov_b64 exec, s[32:33]                                   // 00000000ADD0: BEFE0120
	global_atomic_pk_add_bf16 v92, v76, s[8:9]                 // 00000000ADD4: DD488000 00084C5C
	s_mov_b64 exec, s[36:37]                                   // 00000000ADDC: BEFE0124
	s_mov_b64 exec, s[32:33]                                   // 00000000ADE0: BEFE0120
	global_atomic_pk_add_bf16 v92, v77, s[8:9] offset:256      // 00000000ADE4: DD488100 00084D5C
	s_mov_b64 exec, s[36:37]                                   // 00000000ADEC: BEFE0124
	s_mov_b64 exec, s[34:35]                                   // 00000000ADF0: BEFE0122
	global_atomic_pk_add_bf16 v94, v78, s[8:9]                 // 00000000ADF4: DD488000 00084E5E
	s_mov_b64 exec, s[36:37]                                   // 00000000ADFC: BEFE0124
	s_mov_b64 exec, s[34:35]                                   // 00000000AE00: BEFE0122
	global_atomic_pk_add_bf16 v94, v79, s[8:9] offset:256      // 00000000AE04: DD488100 00084F5E
	s_mov_b64 exec, s[36:37]                                   // 00000000AE0C: BEFE0124
	s_add_u32 s8, s59, s8                                      // 00000000AE10: 8008083B
	s_addc_u32 s9, 0, s9                                       // 00000000AE14: 82090980
	s_addk_i32 s80, 0x100                                      // 00000000AE18: B7500100
	s_cmp_lt_i32 s80, s81                                      // 00000000AE1C: BF045150
	s_cbranch_scc0 label_134A                                  // 00000000AE20: BF84F281
	s_waitcnt vmcnt(41)                                        // 00000000AE24: BF8C8F79
	s_barrier                                                  // 00000000AE28: BF8A0000
	v_mfma_f32_16x16x32_fp8_fp8 v[216:219], a[112:113], v[128:129], 0// 00000000AE2C: D3F300D8 0A030170
	buffer_load_dwordx4 a[0:3], v41, s[12:15], 0 offen         // 00000000AE34: E05C1000 80830029
	v_mfma_f32_16x16x32_fp8_fp8 v[216:219], a[114:115], v[130:131], v[216:219]// 00000000AE3C: D3F300D8 0F630572
	v_mfma_f32_16x16x32_fp8_fp8 v[220:223], a[112:113], v[156:157], 0// 00000000AE44: D3F300DC 0A033970
	v_mfma_f32_16x16x32_fp8_fp8 v[220:223], a[114:115], v[158:159], v[220:223]// 00000000AE4C: D3F300DC 0F733D72
	v_mfma_f32_16x16x32_fp8_fp8 v[224:227], a[116:117], v[128:129], 0// 00000000AE54: D3F300E0 0A030174
	buffer_load_dwordx4 a[4:7], v42, s[12:15], 0 offen         // 00000000AE5C: E05C1000 8083042A
	v_mfma_f32_16x16x32_fp8_fp8 v[224:227], a[118:119], v[130:131], v[224:227]// 00000000AE64: D3F300E0 0F830576
	v_mfma_f32_16x16x32_fp8_fp8 v[228:231], a[116:117], v[156:157], 0// 00000000AE6C: D3F300E4 0A033974
	v_mfma_f32_16x16x32_fp8_fp8 v[228:231], a[118:119], v[158:159], v[228:231]// 00000000AE74: D3F300E4 0F933D76
	v_mfma_f32_16x16x32_fp8_fp8 v[232:235], a[120:121], v[128:129], 0// 00000000AE7C: D3F300E8 0A030178
	buffer_load_dwordx4 a[8:11], v43, s[12:15], 0 offen        // 00000000AE84: E05C1000 8083082B
	v_mfma_f32_16x16x32_fp8_fp8 v[232:235], a[122:123], v[130:131], v[232:235]// 00000000AE8C: D3F300E8 0FA3057A
	v_mfma_f32_16x16x32_fp8_fp8 v[236:239], a[120:121], v[156:157], 0// 00000000AE94: D3F300EC 0A033978
	v_mfma_f32_16x16x32_fp8_fp8 v[236:239], a[122:123], v[158:159], v[236:239]// 00000000AE9C: D3F300EC 0FB33D7A
	v_mfma_f32_16x16x32_fp8_fp8 v[240:243], a[124:125], v[128:129], 0// 00000000AEA4: D3F300F0 0A03017C
	buffer_load_dwordx4 a[12:15], v44, s[12:15], 0 offen       // 00000000AEAC: E05C1000 80830C2C
	s_add_u32 s12, s78, s12                                    // 00000000AEB4: 800C0C4E
	s_addc_u32 s13, 0, s13                                     // 00000000AEB8: 820D0D80
	v_mfma_f32_16x16x32_fp8_fp8 v[240:243], a[126:127], v[130:131], v[240:243]// 00000000AEBC: D3F300F0 0FC3057E
	v_mfma_f32_16x16x32_fp8_fp8 v[244:247], a[124:125], v[156:157], 0// 00000000AEC4: D3F300F4 0A03397C
	v_mfma_f32_16x16x32_fp8_fp8 v[244:247], a[126:127], v[158:159], v[244:247]// 00000000AECC: D3F300F4 0FD33D7E
	s_waitcnt vmcnt(41)                                        // 00000000AED4: BF8C8F79
	v_mfma_f32_16x16x32_fp8_fp8 v[216:219], a[128:129], v[132:133], v[216:219]// 00000000AED8: D3F300D8 0F630980
	buffer_load_dwordx4 a[16:19], v41, s[12:15], 0 offen       // 00000000AEE0: E05C1000 80831029
	v_mfma_f32_16x16x32_fp8_fp8 v[216:219], a[130:131], v[134:135], v[216:219]// 00000000AEE8: D3F300D8 0F630D82
	v_mfma_f32_16x16x32_fp8_fp8 v[220:223], a[128:129], v[160:161], v[220:223]// 00000000AEF0: D3F300DC 0F734180
	v_mfma_f32_16x16x32_fp8_fp8 v[220:223], a[130:131], v[162:163], v[220:223]// 00000000AEF8: D3F300DC 0F734582
	v_mfma_f32_16x16x32_fp8_fp8 v[224:227], a[132:133], v[132:133], v[224:227]// 00000000AF00: D3F300E0 0F830984
	buffer_load_dwordx4 a[20:23], v42, s[12:15], 0 offen       // 00000000AF08: E05C1000 8083142A
	v_mfma_f32_16x16x32_fp8_fp8 v[224:227], a[134:135], v[134:135], v[224:227]// 00000000AF10: D3F300E0 0F830D86
	v_mfma_f32_16x16x32_fp8_fp8 v[228:231], a[132:133], v[160:161], v[228:231]// 00000000AF18: D3F300E4 0F934184
	v_mfma_f32_16x16x32_fp8_fp8 v[228:231], a[134:135], v[162:163], v[228:231]// 00000000AF20: D3F300E4 0F934586
	v_mfma_f32_16x16x32_fp8_fp8 v[232:235], a[136:137], v[132:133], v[232:235]// 00000000AF28: D3F300E8 0FA30988
	buffer_load_dwordx4 a[24:27], v43, s[12:15], 0 offen       // 00000000AF30: E05C1000 8083182B
	v_mfma_f32_16x16x32_fp8_fp8 v[232:235], a[138:139], v[134:135], v[232:235]// 00000000AF38: D3F300E8 0FA30D8A
	v_mfma_f32_16x16x32_fp8_fp8 v[236:239], a[136:137], v[160:161], v[236:239]// 00000000AF40: D3F300EC 0FB34188
	v_mfma_f32_16x16x32_fp8_fp8 v[236:239], a[138:139], v[162:163], v[236:239]// 00000000AF48: D3F300EC 0FB3458A
	v_mfma_f32_16x16x32_fp8_fp8 v[240:243], a[140:141], v[132:133], v[240:243]// 00000000AF50: D3F300F0 0FC3098C
	buffer_load_dwordx4 a[28:31], v44, s[12:15], 0 offen       // 00000000AF58: E05C1000 80831C2C
	s_add_u32 s12, s78, s12                                    // 00000000AF60: 800C0C4E
	s_addc_u32 s13, 0, s13                                     // 00000000AF64: 820D0D80
	v_mfma_f32_16x16x32_fp8_fp8 v[240:243], a[142:143], v[134:135], v[240:243]// 00000000AF68: D3F300F0 0FC30D8E
	v_mfma_f32_16x16x32_fp8_fp8 v[244:247], a[140:141], v[160:161], v[244:247]// 00000000AF70: D3F300F4 0FD3418C
	v_mfma_f32_16x16x32_fp8_fp8 v[244:247], a[142:143], v[162:163], v[244:247]// 00000000AF78: D3F300F4 0FD3458E
	s_waitcnt vmcnt(41)                                        // 00000000AF80: BF8C8F79
	v_mfma_f32_16x16x32_fp8_fp8 v[216:219], a[144:145], v[136:137], v[216:219]// 00000000AF84: D3F300D8 0F631190
	buffer_load_dwordx4 a[32:35], v41, s[12:15], 0 offen       // 00000000AF8C: E05C1000 80832029
	v_mfma_f32_16x16x32_fp8_fp8 v[216:219], a[146:147], v[138:139], v[216:219]// 00000000AF94: D3F300D8 0F631592
	v_mfma_f32_16x16x32_fp8_fp8 v[220:223], a[144:145], v[164:165], v[220:223]// 00000000AF9C: D3F300DC 0F734990
	v_mfma_f32_16x16x32_fp8_fp8 v[220:223], a[146:147], v[166:167], v[220:223]// 00000000AFA4: D3F300DC 0F734D92
	v_mfma_f32_16x16x32_fp8_fp8 v[224:227], a[148:149], v[136:137], v[224:227]// 00000000AFAC: D3F300E0 0F831194
	buffer_load_dwordx4 a[36:39], v42, s[12:15], 0 offen       // 00000000AFB4: E05C1000 8083242A
	v_mfma_f32_16x16x32_fp8_fp8 v[224:227], a[150:151], v[138:139], v[224:227]// 00000000AFBC: D3F300E0 0F831596
	v_mfma_f32_16x16x32_fp8_fp8 v[228:231], a[148:149], v[164:165], v[228:231]// 00000000AFC4: D3F300E4 0F934994
	v_mfma_f32_16x16x32_fp8_fp8 v[228:231], a[150:151], v[166:167], v[228:231]// 00000000AFCC: D3F300E4 0F934D96
	v_mfma_f32_16x16x32_fp8_fp8 v[232:235], a[152:153], v[136:137], v[232:235]// 00000000AFD4: D3F300E8 0FA31198
	buffer_load_dwordx4 a[40:43], v43, s[12:15], 0 offen       // 00000000AFDC: E05C1000 8083282B
	v_mfma_f32_16x16x32_fp8_fp8 v[232:235], a[154:155], v[138:139], v[232:235]// 00000000AFE4: D3F300E8 0FA3159A
	v_mfma_f32_16x16x32_fp8_fp8 v[236:239], a[152:153], v[164:165], v[236:239]// 00000000AFEC: D3F300EC 0FB34998
	v_mfma_f32_16x16x32_fp8_fp8 v[236:239], a[154:155], v[166:167], v[236:239]// 00000000AFF4: D3F300EC 0FB34D9A
	v_mfma_f32_16x16x32_fp8_fp8 v[240:243], a[156:157], v[136:137], v[240:243]// 00000000AFFC: D3F300F0 0FC3119C
	buffer_load_dwordx4 a[44:47], v44, s[12:15], 0 offen       // 00000000B004: E05C1000 80832C2C
	s_add_u32 s12, s78, s12                                    // 00000000B00C: 800C0C4E
	s_addc_u32 s13, 0, s13                                     // 00000000B010: 820D0D80
	v_mfma_f32_16x16x32_fp8_fp8 v[240:243], a[158:159], v[138:139], v[240:243]// 00000000B014: D3F300F0 0FC3159E
	v_mfma_f32_16x16x32_fp8_fp8 v[244:247], a[156:157], v[164:165], v[244:247]// 00000000B01C: D3F300F4 0FD3499C
	v_mfma_f32_16x16x32_fp8_fp8 v[244:247], a[158:159], v[166:167], v[244:247]// 00000000B024: D3F300F4 0FD34D9E
	s_waitcnt vmcnt(41)                                        // 00000000B02C: BF8C8F79
	v_mfma_f32_16x16x32_fp8_fp8 v[216:219], a[160:161], v[140:141], v[216:219]// 00000000B030: D3F300D8 0F6319A0
	buffer_load_dwordx4 a[48:51], v41, s[12:15], 0 offen       // 00000000B038: E05C1000 80833029
	v_mfma_f32_16x16x32_fp8_fp8 v[216:219], a[162:163], v[142:143], v[216:219]// 00000000B040: D3F300D8 0F631DA2
	v_mfma_f32_16x16x32_fp8_fp8 v[220:223], a[160:161], v[168:169], v[220:223]// 00000000B048: D3F300DC 0F7351A0
	v_mfma_f32_16x16x32_fp8_fp8 v[220:223], a[162:163], v[170:171], v[220:223]// 00000000B050: D3F300DC 0F7355A2
	v_mfma_f32_16x16x32_fp8_fp8 v[224:227], a[164:165], v[140:141], v[224:227]// 00000000B058: D3F300E0 0F8319A4
	buffer_load_dwordx4 a[52:55], v42, s[12:15], 0 offen       // 00000000B060: E05C1000 8083342A
	v_mfma_f32_16x16x32_fp8_fp8 v[224:227], a[166:167], v[142:143], v[224:227]// 00000000B068: D3F300E0 0F831DA6
	v_mfma_f32_16x16x32_fp8_fp8 v[228:231], a[164:165], v[168:169], v[228:231]// 00000000B070: D3F300E4 0F9351A4
	v_mfma_f32_16x16x32_fp8_fp8 v[228:231], a[166:167], v[170:171], v[228:231]// 00000000B078: D3F300E4 0F9355A6
	v_mfma_f32_16x16x32_fp8_fp8 v[232:235], a[168:169], v[140:141], v[232:235]// 00000000B080: D3F300E8 0FA319A8
	buffer_load_dwordx4 a[56:59], v43, s[12:15], 0 offen       // 00000000B088: E05C1000 8083382B
	v_mfma_f32_16x16x32_fp8_fp8 v[232:235], a[170:171], v[142:143], v[232:235]// 00000000B090: D3F300E8 0FA31DAA
	v_mfma_f32_16x16x32_fp8_fp8 v[236:239], a[168:169], v[168:169], v[236:239]// 00000000B098: D3F300EC 0FB351A8
	v_mfma_f32_16x16x32_fp8_fp8 v[236:239], a[170:171], v[170:171], v[236:239]// 00000000B0A0: D3F300EC 0FB355AA
	v_mfma_f32_16x16x32_fp8_fp8 v[240:243], a[172:173], v[140:141], v[240:243]// 00000000B0A8: D3F300F0 0FC319AC
	buffer_load_dwordx4 a[60:63], v44, s[12:15], 0 offen       // 00000000B0B0: E05C1000 80833C2C
	s_add_u32 s12, s78, s12                                    // 00000000B0B8: 800C0C4E
	s_addc_u32 s13, 0, s13                                     // 00000000B0BC: 820D0D80
	v_mfma_f32_16x16x32_fp8_fp8 v[240:243], a[174:175], v[142:143], v[240:243]// 00000000B0C0: D3F300F0 0FC31DAE
	v_mfma_f32_16x16x32_fp8_fp8 v[244:247], a[172:173], v[168:169], v[244:247]// 00000000B0C8: D3F300F4 0FD351AC
	v_mfma_f32_16x16x32_fp8_fp8 v[244:247], a[174:175], v[170:171], v[244:247]// 00000000B0D0: D3F300F4 0FD355AE
	s_waitcnt vmcnt(41)                                        // 00000000B0D8: BF8C8F79
	v_mfma_f32_16x16x32_fp8_fp8 v[216:219], a[176:177], v[144:145], v[216:219]// 00000000B0DC: D3F300D8 0F6321B0
	buffer_load_dwordx4 a[64:67], v41, s[12:15], 0 offen       // 00000000B0E4: E05C1000 80834029
	v_mfma_f32_16x16x32_fp8_fp8 v[216:219], a[178:179], v[146:147], v[216:219]// 00000000B0EC: D3F300D8 0F6325B2
	v_mfma_f32_16x16x32_fp8_fp8 v[220:223], a[176:177], v[172:173], v[220:223]// 00000000B0F4: D3F300DC 0F7359B0
	v_mfma_f32_16x16x32_fp8_fp8 v[220:223], a[178:179], v[174:175], v[220:223]// 00000000B0FC: D3F300DC 0F735DB2
	v_mfma_f32_16x16x32_fp8_fp8 v[224:227], a[180:181], v[144:145], v[224:227]// 00000000B104: D3F300E0 0F8321B4
	buffer_load_dwordx4 a[68:71], v42, s[12:15], 0 offen       // 00000000B10C: E05C1000 8083442A
	v_mfma_f32_16x16x32_fp8_fp8 v[224:227], a[182:183], v[146:147], v[224:227]// 00000000B114: D3F300E0 0F8325B6
	v_mfma_f32_16x16x32_fp8_fp8 v[228:231], a[180:181], v[172:173], v[228:231]// 00000000B11C: D3F300E4 0F9359B4
	v_mfma_f32_16x16x32_fp8_fp8 v[228:231], a[182:183], v[174:175], v[228:231]// 00000000B124: D3F300E4 0F935DB6
	v_mfma_f32_16x16x32_fp8_fp8 v[232:235], a[184:185], v[144:145], v[232:235]// 00000000B12C: D3F300E8 0FA321B8
	buffer_load_dwordx4 a[72:75], v43, s[12:15], 0 offen       // 00000000B134: E05C1000 8083482B
	v_mfma_f32_16x16x32_fp8_fp8 v[232:235], a[186:187], v[146:147], v[232:235]// 00000000B13C: D3F300E8 0FA325BA
	v_mfma_f32_16x16x32_fp8_fp8 v[236:239], a[184:185], v[172:173], v[236:239]// 00000000B144: D3F300EC 0FB359B8
	v_mfma_f32_16x16x32_fp8_fp8 v[236:239], a[186:187], v[174:175], v[236:239]// 00000000B14C: D3F300EC 0FB35DBA
	v_mfma_f32_16x16x32_fp8_fp8 v[240:243], a[188:189], v[144:145], v[240:243]// 00000000B154: D3F300F0 0FC321BC
	buffer_load_dwordx4 a[76:79], v44, s[12:15], 0 offen       // 00000000B15C: E05C1000 80834C2C
	s_add_u32 s12, s78, s12                                    // 00000000B164: 800C0C4E
	s_addc_u32 s13, 0, s13                                     // 00000000B168: 820D0D80
	v_mfma_f32_16x16x32_fp8_fp8 v[240:243], a[190:191], v[146:147], v[240:243]// 00000000B16C: D3F300F0 0FC325BE
	v_mfma_f32_16x16x32_fp8_fp8 v[244:247], a[188:189], v[172:173], v[244:247]// 00000000B174: D3F300F4 0FD359BC
	v_mfma_f32_16x16x32_fp8_fp8 v[244:247], a[190:191], v[174:175], v[244:247]// 00000000B17C: D3F300F4 0FD35DBE
	s_waitcnt vmcnt(41)                                        // 00000000B184: BF8C8F79
	v_mfma_f32_16x16x32_fp8_fp8 v[216:219], a[192:193], v[148:149], v[216:219]// 00000000B188: D3F300D8 0F6329C0
	buffer_load_dwordx4 a[80:83], v41, s[12:15], 0 offen       // 00000000B190: E05C1000 80835029
	v_mfma_f32_16x16x32_fp8_fp8 v[216:219], a[194:195], v[150:151], v[216:219]// 00000000B198: D3F300D8 0F632DC2
	v_mfma_f32_16x16x32_fp8_fp8 v[220:223], a[192:193], v[176:177], v[220:223]// 00000000B1A0: D3F300DC 0F7361C0
	v_mfma_f32_16x16x32_fp8_fp8 v[220:223], a[194:195], v[178:179], v[220:223]// 00000000B1A8: D3F300DC 0F7365C2
	v_mfma_f32_16x16x32_fp8_fp8 v[224:227], a[196:197], v[148:149], v[224:227]// 00000000B1B0: D3F300E0 0F8329C4
	buffer_load_dwordx4 a[84:87], v42, s[12:15], 0 offen       // 00000000B1B8: E05C1000 8083542A
	v_mfma_f32_16x16x32_fp8_fp8 v[224:227], a[198:199], v[150:151], v[224:227]// 00000000B1C0: D3F300E0 0F832DC6
	v_mfma_f32_16x16x32_fp8_fp8 v[228:231], a[196:197], v[176:177], v[228:231]// 00000000B1C8: D3F300E4 0F9361C4
	v_mfma_f32_16x16x32_fp8_fp8 v[228:231], a[198:199], v[178:179], v[228:231]// 00000000B1D0: D3F300E4 0F9365C6
	v_mfma_f32_16x16x32_fp8_fp8 v[232:235], a[200:201], v[148:149], v[232:235]// 00000000B1D8: D3F300E8 0FA329C8
	buffer_load_dwordx4 a[88:91], v43, s[12:15], 0 offen       // 00000000B1E0: E05C1000 8083582B
	v_mfma_f32_16x16x32_fp8_fp8 v[232:235], a[202:203], v[150:151], v[232:235]// 00000000B1E8: D3F300E8 0FA32DCA
	v_mfma_f32_16x16x32_fp8_fp8 v[236:239], a[200:201], v[176:177], v[236:239]// 00000000B1F0: D3F300EC 0FB361C8
	v_mfma_f32_16x16x32_fp8_fp8 v[236:239], a[202:203], v[178:179], v[236:239]// 00000000B1F8: D3F300EC 0FB365CA
	v_mfma_f32_16x16x32_fp8_fp8 v[240:243], a[204:205], v[148:149], v[240:243]// 00000000B200: D3F300F0 0FC329CC
	buffer_load_dwordx4 a[92:95], v44, s[12:15], 0 offen       // 00000000B208: E05C1000 80835C2C
	s_add_u32 s12, s78, s12                                    // 00000000B210: 800C0C4E
	s_addc_u32 s13, 0, s13                                     // 00000000B214: 820D0D80
	v_mfma_f32_16x16x32_fp8_fp8 v[240:243], a[206:207], v[150:151], v[240:243]// 00000000B218: D3F300F0 0FC32DCE
	v_mfma_f32_16x16x32_fp8_fp8 v[244:247], a[204:205], v[176:177], v[244:247]// 00000000B220: D3F300F4 0FD361CC
	v_mfma_f32_16x16x32_fp8_fp8 v[244:247], a[206:207], v[178:179], v[244:247]// 00000000B228: D3F300F4 0FD365CE
	s_waitcnt vmcnt(40)                                        // 00000000B230: BF8C8F78
	v_mfma_f32_16x16x32_fp8_fp8 v[216:219], a[208:209], v[152:153], v[216:219]// 00000000B234: D3F300D8 0F6331D0
	buffer_load_dwordx4 a[96:99], v41, s[12:15], 0 offen       // 00000000B23C: E05C1000 80836029
	v_mfma_f32_16x16x32_fp8_fp8 v[216:219], a[210:211], v[154:155], v[216:219]// 00000000B244: D3F300D8 0F6335D2
	v_mfma_f32_16x16x32_fp8_fp8 v[220:223], a[208:209], v[180:181], v[220:223]// 00000000B24C: D3F300DC 0F7369D0
	buffer_load_dword v12, v5, s[16:19], 0 offen               // 00000000B254: E0501000 80040C05
	v_mfma_f32_16x16x32_fp8_fp8 v[220:223], a[210:211], v[182:183], v[220:223]// 00000000B25C: D3F300DC 0F736DD2
	v_mfma_f32_16x16x32_fp8_fp8 v[224:227], a[212:213], v[152:153], v[224:227]// 00000000B264: D3F300E0 0F8331D4
	buffer_load_dwordx4 a[100:103], v42, s[12:15], 0 offen     // 00000000B26C: E05C1000 8083642A
	v_mfma_f32_16x16x32_fp8_fp8 v[224:227], a[214:215], v[154:155], v[224:227]// 00000000B274: D3F300E0 0F8335D6
	v_mfma_f32_16x16x32_fp8_fp8 v[228:231], a[212:213], v[180:181], v[228:231]// 00000000B27C: D3F300E4 0F9369D4
	v_mfma_f32_16x16x32_fp8_fp8 v[228:231], a[214:215], v[182:183], v[228:231]// 00000000B284: D3F300E4 0F936DD6
	v_mfma_f32_16x16x32_fp8_fp8 v[232:235], a[216:217], v[152:153], v[232:235]// 00000000B28C: D3F300E8 0FA331D8
	buffer_load_dwordx4 a[104:107], v43, s[12:15], 0 offen     // 00000000B294: E05C1000 8083682B
	v_mfma_f32_16x16x32_fp8_fp8 v[232:235], a[218:219], v[154:155], v[232:235]// 00000000B29C: D3F300E8 0FA335DA
	v_mfma_f32_16x16x32_fp8_fp8 v[236:239], a[216:217], v[180:181], v[236:239]// 00000000B2A4: D3F300EC 0FB369D8
	v_mfma_f32_16x16x32_fp8_fp8 v[236:239], a[218:219], v[182:183], v[236:239]// 00000000B2AC: D3F300EC 0FB36DDA
	v_mfma_f32_16x16x32_fp8_fp8 v[240:243], a[220:221], v[152:153], v[240:243]// 00000000B2B4: D3F300F0 0FC331DC
	buffer_load_dwordx4 a[108:111], v44, s[12:15], 0 offen     // 00000000B2BC: E05C1000 80836C2C
	v_mfma_f32_16x16x32_fp8_fp8 v[240:243], a[222:223], v[154:155], v[240:243]// 00000000B2C4: D3F300F0 0FC335DE
	v_mfma_f32_16x16x32_fp8_fp8 v[244:247], a[220:221], v[180:181], v[244:247]// 00000000B2CC: D3F300F4 0FD369DC
	v_mfma_f32_16x16x32_fp8_fp8 v[244:247], a[222:223], v[182:183], v[244:247]// 00000000B2D4: D3F300F4 0FD36DDE
	s_add_u32 s60, 0x200, s80                                  // 00000000B2DC: 803C50FF 00000200
	s_cmp_lt_u32 s60, s81                                      // 00000000B2E4: BF0A513C
	s_cselect_b32 s56, s56, 0                                  // 00000000B2E8: 85388038
	s_cselect_b32 s78, s78, 0                                  // 00000000B2EC: 854E804E
	s_cselect_b32 s79, s79, 0                                  // 00000000B2F0: 854F804F
	s_add_u32 s12, s56, s12                                    // 00000000B2F4: 800C0C38
	s_addc_u32 s13, 0, s13                                     // 00000000B2F8: 820D0D80
	s_add_u32 s16, s79, s16                                    // 00000000B2FC: 8010104F
	s_addc_u32 s17, 0, s17                                     // 00000000B300: 82111180
	v_mul_f32_e32 v216, v24, v216                              // 00000000B304: 0BB1B118
	v_mul_f32_e32 v217, v24, v217                              // 00000000B308: 0BB3B318
	v_mul_f32_e32 v218, v24, v218                              // 00000000B30C: 0BB5B518
	v_mul_f32_e32 v219, v24, v219                              // 00000000B310: 0BB7B718
	v_mul_f32_dpp v216, v13, v216 row_newbcast:0 row_mask:0xf bank_mask:0xf// 00000000B314: 0BB1B0FA FF01500D
	v_mul_f32_dpp v217, v13, v217 row_newbcast:1 row_mask:0xf bank_mask:0xf// 00000000B31C: 0BB3B2FA FF01510D
	v_mul_f32_dpp v218, v13, v218 row_newbcast:2 row_mask:0xf bank_mask:0xf// 00000000B324: 0BB5B4FA FF01520D
	v_mul_f32_dpp v219, v13, v219 row_newbcast:3 row_mask:0xf bank_mask:0xf// 00000000B32C: 0BB7B6FA FF01530D
	v_mul_f32_e32 v216, v20, v216                              // 00000000B334: 0BB1B114
	v_mul_f32_e32 v217, v20, v217                              // 00000000B338: 0BB3B314
	v_mul_f32_e32 v218, v20, v218                              // 00000000B33C: 0BB5B514
	v_mul_f32_e32 v219, v20, v219                              // 00000000B340: 0BB7B714
	v_mul_f32_e32 v220, v25, v220                              // 00000000B344: 0BB9B919
	v_mul_f32_e32 v221, v25, v221                              // 00000000B348: 0BBBBB19
	v_mul_f32_e32 v222, v25, v222                              // 00000000B34C: 0BBDBD19
	v_mul_f32_e32 v223, v25, v223                              // 00000000B350: 0BBFBF19
	v_mul_f32_dpp v220, v13, v220 row_newbcast:0 row_mask:0xf bank_mask:0xf// 00000000B354: 0BB9B8FA FF01500D
	v_mul_f32_dpp v221, v13, v221 row_newbcast:1 row_mask:0xf bank_mask:0xf// 00000000B35C: 0BBBBAFA FF01510D
	v_mul_f32_dpp v222, v13, v222 row_newbcast:2 row_mask:0xf bank_mask:0xf// 00000000B364: 0BBDBCFA FF01520D
	v_mul_f32_dpp v223, v13, v223 row_newbcast:3 row_mask:0xf bank_mask:0xf// 00000000B36C: 0BBFBEFA FF01530D
	v_mul_f32_e32 v220, v21, v220                              // 00000000B374: 0BB9B915
	v_mul_f32_e32 v221, v21, v221                              // 00000000B378: 0BBBBB15
	v_mul_f32_e32 v222, v21, v222                              // 00000000B37C: 0BBDBD15
	v_mul_f32_e32 v223, v21, v223                              // 00000000B380: 0BBFBF15
	v_mul_f32_e32 v224, v24, v224                              // 00000000B384: 0BC1C118
	v_mul_f32_e32 v225, v24, v225                              // 00000000B388: 0BC3C318
	v_mul_f32_e32 v226, v24, v226                              // 00000000B38C: 0BC5C518
	v_mul_f32_e32 v227, v24, v227                              // 00000000B390: 0BC7C718
	v_mul_f32_dpp v224, v13, v224 row_newbcast:4 row_mask:0xf bank_mask:0xf// 00000000B394: 0BC1C0FA FF01540D
	v_mul_f32_dpp v225, v13, v225 row_newbcast:5 row_mask:0xf bank_mask:0xf// 00000000B39C: 0BC3C2FA FF01550D
	v_mul_f32_dpp v226, v13, v226 row_newbcast:6 row_mask:0xf bank_mask:0xf// 00000000B3A4: 0BC5C4FA FF01560D
	v_mul_f32_dpp v227, v13, v227 row_newbcast:7 row_mask:0xf bank_mask:0xf// 00000000B3AC: 0BC7C6FA FF01570D
	v_mul_f32_e32 v224, v20, v224                              // 00000000B3B4: 0BC1C114
	v_mul_f32_e32 v225, v20, v225                              // 00000000B3B8: 0BC3C314
	v_mul_f32_e32 v226, v20, v226                              // 00000000B3BC: 0BC5C514
	v_mul_f32_e32 v227, v20, v227                              // 00000000B3C0: 0BC7C714
	v_mul_f32_e32 v228, v25, v228                              // 00000000B3C4: 0BC9C919
	v_mul_f32_e32 v229, v25, v229                              // 00000000B3C8: 0BCBCB19
	v_mul_f32_e32 v230, v25, v230                              // 00000000B3CC: 0BCDCD19
	v_mul_f32_e32 v231, v25, v231                              // 00000000B3D0: 0BCFCF19
	v_mul_f32_dpp v228, v13, v228 row_newbcast:4 row_mask:0xf bank_mask:0xf// 00000000B3D4: 0BC9C8FA FF01540D
	v_mul_f32_dpp v229, v13, v229 row_newbcast:5 row_mask:0xf bank_mask:0xf// 00000000B3DC: 0BCBCAFA FF01550D
	v_mul_f32_dpp v230, v13, v230 row_newbcast:6 row_mask:0xf bank_mask:0xf// 00000000B3E4: 0BCDCCFA FF01560D
	v_mul_f32_dpp v231, v13, v231 row_newbcast:7 row_mask:0xf bank_mask:0xf// 00000000B3EC: 0BCFCEFA FF01570D
	v_mul_f32_e32 v228, v21, v228                              // 00000000B3F4: 0BC9C915
	v_mul_f32_e32 v229, v21, v229                              // 00000000B3F8: 0BCBCB15
	v_mul_f32_e32 v230, v21, v230                              // 00000000B3FC: 0BCDCD15
	v_mul_f32_e32 v231, v21, v231                              // 00000000B400: 0BCFCF15
	v_mul_f32_e32 v232, v24, v232                              // 00000000B404: 0BD1D118
	v_mul_f32_e32 v233, v24, v233                              // 00000000B408: 0BD3D318
	v_mul_f32_e32 v234, v24, v234                              // 00000000B40C: 0BD5D518
	v_mul_f32_e32 v235, v24, v235                              // 00000000B410: 0BD7D718
	v_mul_f32_dpp v232, v13, v232 row_newbcast:8 row_mask:0xf bank_mask:0xf// 00000000B414: 0BD1D0FA FF01580D
	v_mul_f32_dpp v233, v13, v233 row_newbcast:9 row_mask:0xf bank_mask:0xf// 00000000B41C: 0BD3D2FA FF01590D
	v_mul_f32_dpp v234, v13, v234 row_newbcast:10 row_mask:0xf bank_mask:0xf// 00000000B424: 0BD5D4FA FF015A0D
	v_mul_f32_dpp v235, v13, v235 row_newbcast:11 row_mask:0xf bank_mask:0xf// 00000000B42C: 0BD7D6FA FF015B0D
	v_mul_f32_e32 v232, v20, v232                              // 00000000B434: 0BD1D114
	v_mul_f32_e32 v233, v20, v233                              // 00000000B438: 0BD3D314
	v_mul_f32_e32 v234, v20, v234                              // 00000000B43C: 0BD5D514
	v_mul_f32_e32 v235, v20, v235                              // 00000000B440: 0BD7D714
	v_mul_f32_e32 v236, v25, v236                              // 00000000B444: 0BD9D919
	v_mul_f32_e32 v237, v25, v237                              // 00000000B448: 0BDBDB19
	v_mul_f32_e32 v238, v25, v238                              // 00000000B44C: 0BDDDD19
	v_mul_f32_e32 v239, v25, v239                              // 00000000B450: 0BDFDF19
	v_mul_f32_dpp v236, v13, v236 row_newbcast:8 row_mask:0xf bank_mask:0xf// 00000000B454: 0BD9D8FA FF01580D
	v_mul_f32_dpp v237, v13, v237 row_newbcast:9 row_mask:0xf bank_mask:0xf// 00000000B45C: 0BDBDAFA FF01590D
	v_mul_f32_dpp v238, v13, v238 row_newbcast:10 row_mask:0xf bank_mask:0xf// 00000000B464: 0BDDDCFA FF015A0D
	v_mul_f32_dpp v239, v13, v239 row_newbcast:11 row_mask:0xf bank_mask:0xf// 00000000B46C: 0BDFDEFA FF015B0D
	v_mul_f32_e32 v236, v21, v236                              // 00000000B474: 0BD9D915
	v_mul_f32_e32 v237, v21, v237                              // 00000000B478: 0BDBDB15
	v_mul_f32_e32 v238, v21, v238                              // 00000000B47C: 0BDDDD15
	v_mul_f32_e32 v239, v21, v239                              // 00000000B480: 0BDFDF15
	v_mul_f32_e32 v240, v24, v240                              // 00000000B484: 0BE1E118
	v_mul_f32_e32 v241, v24, v241                              // 00000000B488: 0BE3E318
	v_mul_f32_e32 v242, v24, v242                              // 00000000B48C: 0BE5E518
	v_mul_f32_e32 v243, v24, v243                              // 00000000B490: 0BE7E718
	v_mul_f32_dpp v240, v13, v240 row_newbcast:12 row_mask:0xf bank_mask:0xf// 00000000B494: 0BE1E0FA FF015C0D
	v_mul_f32_dpp v241, v13, v241 row_newbcast:13 row_mask:0xf bank_mask:0xf// 00000000B49C: 0BE3E2FA FF015D0D
	v_mul_f32_dpp v242, v13, v242 row_newbcast:14 row_mask:0xf bank_mask:0xf// 00000000B4A4: 0BE5E4FA FF015E0D
	v_mul_f32_dpp v243, v13, v243 row_newbcast:15 row_mask:0xf bank_mask:0xf// 00000000B4AC: 0BE7E6FA FF015F0D
	v_mul_f32_e32 v240, v20, v240                              // 00000000B4B4: 0BE1E114
	v_mul_f32_e32 v241, v20, v241                              // 00000000B4B8: 0BE3E314
	v_mul_f32_e32 v242, v20, v242                              // 00000000B4BC: 0BE5E514
	v_mul_f32_e32 v243, v20, v243                              // 00000000B4C0: 0BE7E714
	v_mul_f32_e32 v244, v25, v244                              // 00000000B4C4: 0BE9E919
	v_mul_f32_e32 v245, v25, v245                              // 00000000B4C8: 0BEBEB19
	v_mul_f32_e32 v246, v25, v246                              // 00000000B4CC: 0BEDED19
	v_mul_f32_e32 v247, v25, v247                              // 00000000B4D0: 0BEFEF19
	v_mul_f32_dpp v244, v13, v244 row_newbcast:12 row_mask:0xf bank_mask:0xf// 00000000B4D4: 0BE9E8FA FF015C0D
	v_mul_f32_dpp v245, v13, v245 row_newbcast:13 row_mask:0xf bank_mask:0xf// 00000000B4DC: 0BEBEAFA FF015D0D
	v_mul_f32_dpp v246, v13, v246 row_newbcast:14 row_mask:0xf bank_mask:0xf// 00000000B4E4: 0BEDECFA FF015E0D
	v_mul_f32_dpp v247, v13, v247 row_newbcast:15 row_mask:0xf bank_mask:0xf// 00000000B4EC: 0BEFEEFA FF015F0D
	v_mul_f32_e32 v244, v21, v244                              // 00000000B4F4: 0BE9E915
	v_mul_f32_e32 v245, v21, v245                              // 00000000B4F8: 0BEBEB15
	v_mul_f32_e32 v246, v21, v246                              // 00000000B4FC: 0BEDED15
	v_mul_f32_e32 v247, v21, v247                              // 00000000B500: 0BEFEF15
	v_cmp_u_f32_e64 s[48:49], v216, v216                       // 00000000B504: D0480030 0003B1D8
	v_add3_u32 v45, v216, v48, 1                               // 00000000B50C: D1FF002D 020661D8
	v_cndmask_b32_e64 v52, v45, v47, s[48:49]                  // 00000000B514: D1000034 00C25F2D
	v_cmp_u_f32_e64 s[48:49], v217, v217                       // 00000000B51C: D0480030 0003B3D9
	v_add3_u32 v45, v217, v48, 1                               // 00000000B524: D1FF002D 020661D9
	v_cndmask_b32_e64 v53, v45, v47, s[48:49]                  // 00000000B52C: D1000035 00C25F2D
	v_perm_b32 v216, v53, v52, s52                             // 00000000B534: D1ED00D8 00D26935
	v_cmp_u_f32_e64 s[48:49], v218, v218                       // 00000000B53C: D0480030 0003B5DA
	v_add3_u32 v45, v218, v48, 1                               // 00000000B544: D1FF002D 020661DA
	v_cndmask_b32_e64 v52, v45, v47, s[48:49]                  // 00000000B54C: D1000034 00C25F2D
	v_cmp_u_f32_e64 s[48:49], v219, v219                       // 00000000B554: D0480030 0003B7DB
	v_add3_u32 v45, v219, v48, 1                               // 00000000B55C: D1FF002D 020661DB
	v_cndmask_b32_e64 v53, v45, v47, s[48:49]                  // 00000000B564: D1000035 00C25F2D
	v_perm_b32 v217, v53, v52, s52                             // 00000000B56C: D1ED00D9 00D26935
	v_cmp_u_f32_e64 s[48:49], v220, v220                       // 00000000B574: D0480030 0003B9DC
	v_add3_u32 v45, v220, v48, 1                               // 00000000B57C: D1FF002D 020661DC
	v_cndmask_b32_e64 v52, v45, v47, s[48:49]                  // 00000000B584: D1000034 00C25F2D
	v_cmp_u_f32_e64 s[48:49], v221, v221                       // 00000000B58C: D0480030 0003BBDD
	v_add3_u32 v45, v221, v48, 1                               // 00000000B594: D1FF002D 020661DD
	v_cndmask_b32_e64 v53, v45, v47, s[48:49]                  // 00000000B59C: D1000035 00C25F2D
	v_perm_b32 v218, v53, v52, s52                             // 00000000B5A4: D1ED00DA 00D26935
	v_cmp_u_f32_e64 s[48:49], v222, v222                       // 00000000B5AC: D0480030 0003BDDE
	v_add3_u32 v45, v222, v48, 1                               // 00000000B5B4: D1FF002D 020661DE
	v_cndmask_b32_e64 v52, v45, v47, s[48:49]                  // 00000000B5BC: D1000034 00C25F2D
	v_cmp_u_f32_e64 s[48:49], v223, v223                       // 00000000B5C4: D0480030 0003BFDF
	v_add3_u32 v45, v223, v48, 1                               // 00000000B5CC: D1FF002D 020661DF
	v_cndmask_b32_e64 v53, v45, v47, s[48:49]                  // 00000000B5D4: D1000035 00C25F2D
	v_perm_b32 v219, v53, v52, s52                             // 00000000B5DC: D1ED00DB 00D26935
	v_cmp_u_f32_e64 s[48:49], v224, v224                       // 00000000B5E4: D0480030 0003C1E0
	v_add3_u32 v45, v224, v48, 1                               // 00000000B5EC: D1FF002D 020661E0
	v_cndmask_b32_e64 v52, v45, v47, s[48:49]                  // 00000000B5F4: D1000034 00C25F2D
	v_cmp_u_f32_e64 s[48:49], v225, v225                       // 00000000B5FC: D0480030 0003C3E1
	v_add3_u32 v45, v225, v48, 1                               // 00000000B604: D1FF002D 020661E1
	v_cndmask_b32_e64 v53, v45, v47, s[48:49]                  // 00000000B60C: D1000035 00C25F2D
	v_perm_b32 v220, v53, v52, s52                             // 00000000B614: D1ED00DC 00D26935
	v_cmp_u_f32_e64 s[48:49], v226, v226                       // 00000000B61C: D0480030 0003C5E2
	v_add3_u32 v45, v226, v48, 1                               // 00000000B624: D1FF002D 020661E2
	v_cndmask_b32_e64 v52, v45, v47, s[48:49]                  // 00000000B62C: D1000034 00C25F2D
	v_cmp_u_f32_e64 s[48:49], v227, v227                       // 00000000B634: D0480030 0003C7E3
	v_add3_u32 v45, v227, v48, 1                               // 00000000B63C: D1FF002D 020661E3
	v_cndmask_b32_e64 v53, v45, v47, s[48:49]                  // 00000000B644: D1000035 00C25F2D
	v_perm_b32 v221, v53, v52, s52                             // 00000000B64C: D1ED00DD 00D26935
	v_cmp_u_f32_e64 s[48:49], v228, v228                       // 00000000B654: D0480030 0003C9E4
	v_add3_u32 v45, v228, v48, 1                               // 00000000B65C: D1FF002D 020661E4
	v_cndmask_b32_e64 v52, v45, v47, s[48:49]                  // 00000000B664: D1000034 00C25F2D
	v_cmp_u_f32_e64 s[48:49], v229, v229                       // 00000000B66C: D0480030 0003CBE5
	v_add3_u32 v45, v229, v48, 1                               // 00000000B674: D1FF002D 020661E5
	v_cndmask_b32_e64 v53, v45, v47, s[48:49]                  // 00000000B67C: D1000035 00C25F2D
	v_perm_b32 v222, v53, v52, s52                             // 00000000B684: D1ED00DE 00D26935
	v_cmp_u_f32_e64 s[48:49], v230, v230                       // 00000000B68C: D0480030 0003CDE6
	v_add3_u32 v45, v230, v48, 1                               // 00000000B694: D1FF002D 020661E6
	v_cndmask_b32_e64 v52, v45, v47, s[48:49]                  // 00000000B69C: D1000034 00C25F2D
	v_cmp_u_f32_e64 s[48:49], v231, v231                       // 00000000B6A4: D0480030 0003CFE7
	v_add3_u32 v45, v231, v48, 1                               // 00000000B6AC: D1FF002D 020661E7
	v_cndmask_b32_e64 v53, v45, v47, s[48:49]                  // 00000000B6B4: D1000035 00C25F2D
	v_perm_b32 v223, v53, v52, s52                             // 00000000B6BC: D1ED00DF 00D26935
	v_cmp_u_f32_e64 s[48:49], v232, v232                       // 00000000B6C4: D0480030 0003D1E8
	v_add3_u32 v45, v232, v48, 1                               // 00000000B6CC: D1FF002D 020661E8
	v_cndmask_b32_e64 v52, v45, v47, s[48:49]                  // 00000000B6D4: D1000034 00C25F2D
	v_cmp_u_f32_e64 s[48:49], v233, v233                       // 00000000B6DC: D0480030 0003D3E9
	v_add3_u32 v45, v233, v48, 1                               // 00000000B6E4: D1FF002D 020661E9
	v_cndmask_b32_e64 v53, v45, v47, s[48:49]                  // 00000000B6EC: D1000035 00C25F2D
	v_perm_b32 v224, v53, v52, s52                             // 00000000B6F4: D1ED00E0 00D26935
	v_cmp_u_f32_e64 s[48:49], v234, v234                       // 00000000B6FC: D0480030 0003D5EA
	v_add3_u32 v45, v234, v48, 1                               // 00000000B704: D1FF002D 020661EA
	v_cndmask_b32_e64 v52, v45, v47, s[48:49]                  // 00000000B70C: D1000034 00C25F2D
	v_cmp_u_f32_e64 s[48:49], v235, v235                       // 00000000B714: D0480030 0003D7EB
	v_add3_u32 v45, v235, v48, 1                               // 00000000B71C: D1FF002D 020661EB
	v_cndmask_b32_e64 v53, v45, v47, s[48:49]                  // 00000000B724: D1000035 00C25F2D
	v_perm_b32 v225, v53, v52, s52                             // 00000000B72C: D1ED00E1 00D26935
	v_cmp_u_f32_e64 s[48:49], v236, v236                       // 00000000B734: D0480030 0003D9EC
	v_add3_u32 v45, v236, v48, 1                               // 00000000B73C: D1FF002D 020661EC
	v_cndmask_b32_e64 v52, v45, v47, s[48:49]                  // 00000000B744: D1000034 00C25F2D
	v_cmp_u_f32_e64 s[48:49], v237, v237                       // 00000000B74C: D0480030 0003DBED
	v_add3_u32 v45, v237, v48, 1                               // 00000000B754: D1FF002D 020661ED
	v_cndmask_b32_e64 v53, v45, v47, s[48:49]                  // 00000000B75C: D1000035 00C25F2D
	v_perm_b32 v226, v53, v52, s52                             // 00000000B764: D1ED00E2 00D26935
	v_cmp_u_f32_e64 s[48:49], v238, v238                       // 00000000B76C: D0480030 0003DDEE
	v_add3_u32 v45, v238, v48, 1                               // 00000000B774: D1FF002D 020661EE
	v_cndmask_b32_e64 v52, v45, v47, s[48:49]                  // 00000000B77C: D1000034 00C25F2D
	v_cmp_u_f32_e64 s[48:49], v239, v239                       // 00000000B784: D0480030 0003DFEF
	v_add3_u32 v45, v239, v48, 1                               // 00000000B78C: D1FF002D 020661EF
	v_cndmask_b32_e64 v53, v45, v47, s[48:49]                  // 00000000B794: D1000035 00C25F2D
	v_perm_b32 v227, v53, v52, s52                             // 00000000B79C: D1ED00E3 00D26935
	v_cmp_u_f32_e64 s[48:49], v240, v240                       // 00000000B7A4: D0480030 0003E1F0
	v_add3_u32 v45, v240, v48, 1                               // 00000000B7AC: D1FF002D 020661F0
	v_cndmask_b32_e64 v52, v45, v47, s[48:49]                  // 00000000B7B4: D1000034 00C25F2D
	v_cmp_u_f32_e64 s[48:49], v241, v241                       // 00000000B7BC: D0480030 0003E3F1
	v_add3_u32 v45, v241, v48, 1                               // 00000000B7C4: D1FF002D 020661F1
	v_cndmask_b32_e64 v53, v45, v47, s[48:49]                  // 00000000B7CC: D1000035 00C25F2D
	v_perm_b32 v228, v53, v52, s52                             // 00000000B7D4: D1ED00E4 00D26935
	v_cmp_u_f32_e64 s[48:49], v242, v242                       // 00000000B7DC: D0480030 0003E5F2
	v_add3_u32 v45, v242, v48, 1                               // 00000000B7E4: D1FF002D 020661F2
	v_cndmask_b32_e64 v52, v45, v47, s[48:49]                  // 00000000B7EC: D1000034 00C25F2D
	v_cmp_u_f32_e64 s[48:49], v243, v243                       // 00000000B7F4: D0480030 0003E7F3
	v_add3_u32 v45, v243, v48, 1                               // 00000000B7FC: D1FF002D 020661F3
	v_cndmask_b32_e64 v53, v45, v47, s[48:49]                  // 00000000B804: D1000035 00C25F2D
	v_perm_b32 v229, v53, v52, s52                             // 00000000B80C: D1ED00E5 00D26935
	v_cmp_u_f32_e64 s[48:49], v244, v244                       // 00000000B814: D0480030 0003E9F4
	v_add3_u32 v45, v244, v48, 1                               // 00000000B81C: D1FF002D 020661F4
	v_cndmask_b32_e64 v52, v45, v47, s[48:49]                  // 00000000B824: D1000034 00C25F2D
	v_cmp_u_f32_e64 s[48:49], v245, v245                       // 00000000B82C: D0480030 0003EBF5
	v_add3_u32 v45, v245, v48, 1                               // 00000000B834: D1FF002D 020661F5
	v_cndmask_b32_e64 v53, v45, v47, s[48:49]                  // 00000000B83C: D1000035 00C25F2D
	v_perm_b32 v230, v53, v52, s52                             // 00000000B844: D1ED00E6 00D26935
	v_cmp_u_f32_e64 s[48:49], v246, v246                       // 00000000B84C: D0480030 0003EDF6
	v_add3_u32 v45, v246, v48, 1                               // 00000000B854: D1FF002D 020661F6
	v_cndmask_b32_e64 v52, v45, v47, s[48:49]                  // 00000000B85C: D1000034 00C25F2D
	v_cmp_u_f32_e64 s[48:49], v247, v247                       // 00000000B864: D0480030 0003EFF7
	v_add3_u32 v45, v247, v48, 1                               // 00000000B86C: D1FF002D 020661F7
	v_cndmask_b32_e64 v53, v45, v47, s[48:49]                  // 00000000B874: D1000035 00C25F2D
	v_perm_b32 v231, v53, v52, s52                             // 00000000B87C: D1ED00E7 00D26935
	ds_write_b64 v3, v[216:217] offset:33024                   // 00000000B884: D89A8100 0000D803
	ds_write_b64 v3, v[218:219] offset:41728                   // 00000000B88C: D89AA300 0000DA03
	ds_write_b64 v3, v[220:221] offset:35200                   // 00000000B894: D89A8980 0000DC03
	ds_write_b64 v3, v[222:223] offset:43904                   // 00000000B89C: D89AAB80 0000DE03
	ds_write_b64 v3, v[224:225] offset:37376                   // 00000000B8A4: D89A9200 0000E003
	ds_write_b64 v3, v[226:227] offset:46080                   // 00000000B8AC: D89AB400 0000E203
	ds_write_b64 v3, v[228:229] offset:39552                   // 00000000B8B4: D89A9A80 0000E403
	ds_write_b64 v3, v[230:231] offset:48256                   // 00000000B8BC: D89ABC80 0000E603
	s_waitcnt lgkmcnt(0)                                       // 00000000B8C4: BF8CC07F
	s_barrier                                                  // 00000000B8C8: BF8A0000
	ds_read_b32 v64, v4 offset:33024                           // 00000000B8CC: D86C8100 40000004
	ds_read_b32 v65, v4 offset:37376                           // 00000000B8D4: D86C9200 41000004
	ds_read_b32 v66, v4 offset:33056                           // 00000000B8DC: D86C8120 42000004
	ds_read_b32 v67, v4 offset:37408                           // 00000000B8E4: D86C9220 43000004
	ds_read_b32 v68, v4 offset:33088                           // 00000000B8EC: D86C8140 44000004
	ds_read_b32 v69, v4 offset:37440                           // 00000000B8F4: D86C9240 45000004
	ds_read_b32 v70, v4 offset:33120                           // 00000000B8FC: D86C8160 46000004
	ds_read_b32 v71, v4 offset:37472                           // 00000000B904: D86C9260 47000004
	ds_read_b32 v72, v4 offset:41728                           // 00000000B90C: D86CA300 48000004
	ds_read_b32 v73, v4 offset:46080                           // 00000000B914: D86CB400 49000004
	ds_read_b32 v74, v4 offset:41760                           // 00000000B91C: D86CA320 4A000004
	ds_read_b32 v75, v4 offset:46112                           // 00000000B924: D86CB420 4B000004
	ds_read_b32 v76, v4 offset:41792                           // 00000000B92C: D86CA340 4C000004
	ds_read_b32 v77, v4 offset:46144                           // 00000000B934: D86CB440 4D000004
	ds_read_b32 v78, v4 offset:41824                           // 00000000B93C: D86CA360 4E000004
	ds_read_b32 v79, v4 offset:46176                           // 00000000B944: D86CB460 4F000004
	s_waitcnt lgkmcnt(0)                                       // 00000000B94C: BF8CC07F
	s_mov_b64 exec, s[20:21]                                   // 00000000B950: BEFE0114
	global_atomic_pk_add_bf16 v80, v64, s[8:9]                 // 00000000B954: DD488000 00084050
	s_mov_b64 exec, s[36:37]                                   // 00000000B95C: BEFE0124
	s_mov_b64 exec, s[20:21]                                   // 00000000B960: BEFE0114
	global_atomic_pk_add_bf16 v80, v65, s[8:9] offset:256      // 00000000B964: DD488100 00084150
	s_mov_b64 exec, s[36:37]                                   // 00000000B96C: BEFE0124
	s_mov_b64 exec, s[22:23]                                   // 00000000B970: BEFE0116
	global_atomic_pk_add_bf16 v82, v66, s[8:9]                 // 00000000B974: DD488000 00084252
	s_mov_b64 exec, s[36:37]                                   // 00000000B97C: BEFE0124
	s_mov_b64 exec, s[22:23]                                   // 00000000B980: BEFE0116
	global_atomic_pk_add_bf16 v82, v67, s[8:9] offset:256      // 00000000B984: DD488100 00084352
	s_mov_b64 exec, s[36:37]                                   // 00000000B98C: BEFE0124
	s_mov_b64 exec, s[24:25]                                   // 00000000B990: BEFE0118
	global_atomic_pk_add_bf16 v84, v68, s[8:9]                 // 00000000B994: DD488000 00084454
	s_mov_b64 exec, s[36:37]                                   // 00000000B99C: BEFE0124
	s_mov_b64 exec, s[24:25]                                   // 00000000B9A0: BEFE0118
	global_atomic_pk_add_bf16 v84, v69, s[8:9] offset:256      // 00000000B9A4: DD488100 00084554
	s_mov_b64 exec, s[36:37]                                   // 00000000B9AC: BEFE0124
	s_mov_b64 exec, s[26:27]                                   // 00000000B9B0: BEFE011A
	global_atomic_pk_add_bf16 v86, v70, s[8:9]                 // 00000000B9B4: DD488000 00084656
	s_mov_b64 exec, s[36:37]                                   // 00000000B9BC: BEFE0124
	s_mov_b64 exec, s[26:27]                                   // 00000000B9C0: BEFE011A
	global_atomic_pk_add_bf16 v86, v71, s[8:9] offset:256      // 00000000B9C4: DD488100 00084756
	s_mov_b64 exec, s[36:37]                                   // 00000000B9CC: BEFE0124
	s_mov_b64 exec, s[28:29]                                   // 00000000B9D0: BEFE011C
	global_atomic_pk_add_bf16 v88, v72, s[8:9]                 // 00000000B9D4: DD488000 00084858
	s_mov_b64 exec, s[36:37]                                   // 00000000B9DC: BEFE0124
	s_mov_b64 exec, s[28:29]                                   // 00000000B9E0: BEFE011C
	global_atomic_pk_add_bf16 v88, v73, s[8:9] offset:256      // 00000000B9E4: DD488100 00084958
	s_mov_b64 exec, s[36:37]                                   // 00000000B9EC: BEFE0124
	s_mov_b64 exec, s[30:31]                                   // 00000000B9F0: BEFE011E
	global_atomic_pk_add_bf16 v90, v74, s[8:9]                 // 00000000B9F4: DD488000 00084A5A
	s_mov_b64 exec, s[36:37]                                   // 00000000B9FC: BEFE0124
	s_mov_b64 exec, s[30:31]                                   // 00000000BA00: BEFE011E
	global_atomic_pk_add_bf16 v90, v75, s[8:9] offset:256      // 00000000BA04: DD488100 00084B5A
	s_mov_b64 exec, s[36:37]                                   // 00000000BA0C: BEFE0124
	s_mov_b64 exec, s[32:33]                                   // 00000000BA10: BEFE0120
	global_atomic_pk_add_bf16 v92, v76, s[8:9]                 // 00000000BA14: DD488000 00084C5C
	s_mov_b64 exec, s[36:37]                                   // 00000000BA1C: BEFE0124
	s_mov_b64 exec, s[32:33]                                   // 00000000BA20: BEFE0120
	global_atomic_pk_add_bf16 v92, v77, s[8:9] offset:256      // 00000000BA24: DD488100 00084D5C
	s_mov_b64 exec, s[36:37]                                   // 00000000BA2C: BEFE0124
	s_mov_b64 exec, s[34:35]                                   // 00000000BA30: BEFE0122
	global_atomic_pk_add_bf16 v94, v78, s[8:9]                 // 00000000BA34: DD488000 00084E5E
	s_mov_b64 exec, s[36:37]                                   // 00000000BA3C: BEFE0124
	s_mov_b64 exec, s[34:35]                                   // 00000000BA40: BEFE0122
	global_atomic_pk_add_bf16 v94, v79, s[8:9] offset:256      // 00000000BA44: DD488100 00084F5E
	s_mov_b64 exec, s[36:37]                                   // 00000000BA4C: BEFE0124
	s_add_u32 s8, s59, s8                                      // 00000000BA50: 8008083B
	s_addc_u32 s9, 0, s9                                       // 00000000BA54: 82090980
	s_addk_i32 s80, 0x100                                      // 00000000BA58: B7500100
	s_cmp_lt_i32 s80, s81                                      // 00000000BA5C: BF045150
	s_cbranch_scc0 label_134A                                  // 00000000BA60: BF84EF71
	s_branch label_1DB9                                        // 00000000BA64: BF82F9DF

000000000000ba68 <label_23DA>:
	s_waitcnt vmcnt(0) expcnt(0) lgkmcnt(0)                    // 00000000BA68: BF8C0000
	s_endpgm                                                   // 00000000BA6C: BF810000
